;; amdgpu-corpus repo=ROCm/composable_kernel kind=compiled arch=gfx1030 opt=O3
	.amdgcn_target "amdgcn-amd-amdhsa--gfx1030"
	.amdhsa_code_object_version 6
	.section	.text._ZN2ckL12flush_icacheEv,"axG",@progbits,_ZN2ckL12flush_icacheEv,comdat
	.globl	_ZN2ckL12flush_icacheEv         ; -- Begin function _ZN2ckL12flush_icacheEv
	.p2align	8
	.type	_ZN2ckL12flush_icacheEv,@function
_ZN2ckL12flush_icacheEv:                ; @_ZN2ckL12flush_icacheEv
; %bb.0:
	;;#ASMSTART
	s_icache_inv 
	s_nop 0 
	s_nop 0 
	;; [unrolled: 1-line block ×16, first 2 shown]
	
	;;#ASMEND
	s_endpgm
	.section	.rodata,"a",@progbits
	.p2align	6, 0x0
	.amdhsa_kernel _ZN2ckL12flush_icacheEv
		.amdhsa_group_segment_fixed_size 0
		.amdhsa_private_segment_fixed_size 0
		.amdhsa_kernarg_size 0
		.amdhsa_user_sgpr_count 4
		.amdhsa_user_sgpr_private_segment_buffer 1
		.amdhsa_user_sgpr_dispatch_ptr 0
		.amdhsa_user_sgpr_queue_ptr 0
		.amdhsa_user_sgpr_kernarg_segment_ptr 0
		.amdhsa_user_sgpr_dispatch_id 0
		.amdhsa_user_sgpr_flat_scratch_init 0
		.amdhsa_user_sgpr_private_segment_size 0
		.amdhsa_wavefront_size32 1
		.amdhsa_uses_dynamic_stack 0
		.amdhsa_system_sgpr_private_segment_wavefront_offset 0
		.amdhsa_system_sgpr_workgroup_id_x 1
		.amdhsa_system_sgpr_workgroup_id_y 0
		.amdhsa_system_sgpr_workgroup_id_z 0
		.amdhsa_system_sgpr_workgroup_info 0
		.amdhsa_system_vgpr_workitem_id 0
		.amdhsa_next_free_vgpr 1
		.amdhsa_next_free_sgpr 1
		.amdhsa_reserve_vcc 0
		.amdhsa_reserve_flat_scratch 0
		.amdhsa_float_round_mode_32 0
		.amdhsa_float_round_mode_16_64 0
		.amdhsa_float_denorm_mode_32 3
		.amdhsa_float_denorm_mode_16_64 3
		.amdhsa_dx10_clamp 1
		.amdhsa_ieee_mode 1
		.amdhsa_fp16_overflow 0
		.amdhsa_workgroup_processor_mode 1
		.amdhsa_memory_ordered 1
		.amdhsa_forward_progress 1
		.amdhsa_shared_vgpr_count 0
		.amdhsa_exception_fp_ieee_invalid_op 0
		.amdhsa_exception_fp_denorm_src 0
		.amdhsa_exception_fp_ieee_div_zero 0
		.amdhsa_exception_fp_ieee_overflow 0
		.amdhsa_exception_fp_ieee_underflow 0
		.amdhsa_exception_fp_ieee_inexact 0
		.amdhsa_exception_int_div_zero 0
	.end_amdhsa_kernel
	.section	.text._ZN2ckL12flush_icacheEv,"axG",@progbits,_ZN2ckL12flush_icacheEv,comdat
.Lfunc_end0:
	.size	_ZN2ckL12flush_icacheEv, .Lfunc_end0-_ZN2ckL12flush_icacheEv
                                        ; -- End function
	.set _ZN2ckL12flush_icacheEv.num_vgpr, 0
	.set _ZN2ckL12flush_icacheEv.num_agpr, 0
	.set _ZN2ckL12flush_icacheEv.numbered_sgpr, 0
	.set _ZN2ckL12flush_icacheEv.num_named_barrier, 0
	.set _ZN2ckL12flush_icacheEv.private_seg_size, 0
	.set _ZN2ckL12flush_icacheEv.uses_vcc, 0
	.set _ZN2ckL12flush_icacheEv.uses_flat_scratch, 0
	.set _ZN2ckL12flush_icacheEv.has_dyn_sized_stack, 0
	.set _ZN2ckL12flush_icacheEv.has_recursion, 0
	.set _ZN2ckL12flush_icacheEv.has_indirect_call, 0
	.section	.AMDGPU.csdata,"",@progbits
; Kernel info:
; codeLenInByte = 344
; TotalNumSgprs: 0
; NumVgprs: 0
; ScratchSize: 0
; MemoryBound: 0
; FloatMode: 240
; IeeeMode: 1
; LDSByteSize: 0 bytes/workgroup (compile time only)
; SGPRBlocks: 0
; VGPRBlocks: 0
; NumSGPRsForWavesPerEU: 1
; NumVGPRsForWavesPerEU: 1
; Occupancy: 16
; WaveLimiterHint : 0
; COMPUTE_PGM_RSRC2:SCRATCH_EN: 0
; COMPUTE_PGM_RSRC2:USER_SGPR: 4
; COMPUTE_PGM_RSRC2:TRAP_HANDLER: 0
; COMPUTE_PGM_RSRC2:TGID_X_EN: 1
; COMPUTE_PGM_RSRC2:TGID_Y_EN: 0
; COMPUTE_PGM_RSRC2:TGID_Z_EN: 0
; COMPUTE_PGM_RSRC2:TIDIG_COMP_CNT: 0
	.section	.text._ZN2ck19kernel_gemm_dl_v1r3INS_28GridwiseGemmDl_km_kn_mn_v1r3ILi256EaiaLNS_25InMemoryDataOperationEnumE0ENS_16TensorDescriptorINS_5TupleIJNS_5EmbedINS4_IJiiEEENS4_IJNS_17integral_constantIiLi1EEEiEEELb0EEENS_7UnMergeINS4_IJiNS7_IiLi4EEEEEELb0EEENS_11PassThroughIiEEEEENS4_IJNS_8SequenceIJLi0EEEENSI_IJLi2EEEENSI_IJLi1EEEEEEENS4_IJNSI_IJLi1ELi2EEEENSI_IJLi3ELi4EEEENSI_IJLi5EEEEEEENSI_IJLi3ELi5ELi4EEEElEENS3_INS4_IJNS5_IS6_NS4_IJiS8_EEELb0EEESE_SG_EEENS4_IJSJ_SL_SK_EEESQ_SR_lEENS3_INS4_IJSU_SG_SG_EEESW_NS4_IJSN_NSI_IJLi3EEEENSI_IJLi4EEEEEEESO_lEELi128ELi128ELi16ELi4ELi4ELi4ELi1ENSI_IJLi8ELi2EEEES13_NSI_IJLi2ELi1ELi4ELi4EEEENSI_IJLi8ELi1ELi32ELi1EEEENSI_IJLi0ELi3ELi1ELi2EEEES16_NSI_IJLi1ELi1ELi4ELi1EEEES16_NSI_IJLi1ELi1ELi4ELi4EEEES14_S15_S16_S16_S17_S16_S18_NSI_IJLi0ELi1ELi2ELi3ELi4ELi5EEEELi5ELi4EEEaaNS3_INS4_IJSA_SE_SG_SG_NSB_INS4_IJiNS7_IiLi128EEEEEELb0EEENSF_ISC_EEEEENS4_IJSJ_SK_SL_SZ_SP_S10_EEENS4_IJSN_SO_SP_NSI_IJLi6EEEENSI_IJLi7ELi8EEEENSI_IJLi9EEEEEEENSI_IJLi6ELi7ELi8ELi9EEEElEENS3_INS4_IJSU_SE_SG_SG_S1D_S1E_EEENS4_IJSJ_SL_SK_SZ_SP_S10_EEES1K_S1L_lEENS3_INS4_IJSU_SG_SG_NSB_INS4_IJiNS7_IiLi2EEENS7_IiLi64EEEEEELb0EEES1T_EEENS4_IJSJ_SL_SK_SZ_S10_EEENS4_IJSN_SZ_S10_NSI_IJLi5ELi6ELi7EEEENSI_IJLi8ELi9ELi10EEEEEEENSI_IJLi5ELi6ELi7ELi8ELi9ELi10EEEElEENS_31BlockToCTileMap_M00_N00_M01_N01ILi128ELi128ES12_Lb0EEELb1ELb1EEEvPKT0_S25_PT1_T2_T3_T4_T5_,"axG",@progbits,_ZN2ck19kernel_gemm_dl_v1r3INS_28GridwiseGemmDl_km_kn_mn_v1r3ILi256EaiaLNS_25InMemoryDataOperationEnumE0ENS_16TensorDescriptorINS_5TupleIJNS_5EmbedINS4_IJiiEEENS4_IJNS_17integral_constantIiLi1EEEiEEELb0EEENS_7UnMergeINS4_IJiNS7_IiLi4EEEEEELb0EEENS_11PassThroughIiEEEEENS4_IJNS_8SequenceIJLi0EEEENSI_IJLi2EEEENSI_IJLi1EEEEEEENS4_IJNSI_IJLi1ELi2EEEENSI_IJLi3ELi4EEEENSI_IJLi5EEEEEEENSI_IJLi3ELi5ELi4EEEElEENS3_INS4_IJNS5_IS6_NS4_IJiS8_EEELb0EEESE_SG_EEENS4_IJSJ_SL_SK_EEESQ_SR_lEENS3_INS4_IJSU_SG_SG_EEESW_NS4_IJSN_NSI_IJLi3EEEENSI_IJLi4EEEEEEESO_lEELi128ELi128ELi16ELi4ELi4ELi4ELi1ENSI_IJLi8ELi2EEEES13_NSI_IJLi2ELi1ELi4ELi4EEEENSI_IJLi8ELi1ELi32ELi1EEEENSI_IJLi0ELi3ELi1ELi2EEEES16_NSI_IJLi1ELi1ELi4ELi1EEEES16_NSI_IJLi1ELi1ELi4ELi4EEEES14_S15_S16_S16_S17_S16_S18_NSI_IJLi0ELi1ELi2ELi3ELi4ELi5EEEELi5ELi4EEEaaNS3_INS4_IJSA_SE_SG_SG_NSB_INS4_IJiNS7_IiLi128EEEEEELb0EEENSF_ISC_EEEEENS4_IJSJ_SK_SL_SZ_SP_S10_EEENS4_IJSN_SO_SP_NSI_IJLi6EEEENSI_IJLi7ELi8EEEENSI_IJLi9EEEEEEENSI_IJLi6ELi7ELi8ELi9EEEElEENS3_INS4_IJSU_SE_SG_SG_S1D_S1E_EEENS4_IJSJ_SL_SK_SZ_SP_S10_EEES1K_S1L_lEENS3_INS4_IJSU_SG_SG_NSB_INS4_IJiNS7_IiLi2EEENS7_IiLi64EEEEEELb0EEES1T_EEENS4_IJSJ_SL_SK_SZ_S10_EEENS4_IJSN_SZ_S10_NSI_IJLi5ELi6ELi7EEEENSI_IJLi8ELi9ELi10EEEEEEENSI_IJLi5ELi6ELi7ELi8ELi9ELi10EEEElEENS_31BlockToCTileMap_M00_N00_M01_N01ILi128ELi128ES12_Lb0EEELb1ELb1EEEvPKT0_S25_PT1_T2_T3_T4_T5_,comdat
	.protected	_ZN2ck19kernel_gemm_dl_v1r3INS_28GridwiseGemmDl_km_kn_mn_v1r3ILi256EaiaLNS_25InMemoryDataOperationEnumE0ENS_16TensorDescriptorINS_5TupleIJNS_5EmbedINS4_IJiiEEENS4_IJNS_17integral_constantIiLi1EEEiEEELb0EEENS_7UnMergeINS4_IJiNS7_IiLi4EEEEEELb0EEENS_11PassThroughIiEEEEENS4_IJNS_8SequenceIJLi0EEEENSI_IJLi2EEEENSI_IJLi1EEEEEEENS4_IJNSI_IJLi1ELi2EEEENSI_IJLi3ELi4EEEENSI_IJLi5EEEEEEENSI_IJLi3ELi5ELi4EEEElEENS3_INS4_IJNS5_IS6_NS4_IJiS8_EEELb0EEESE_SG_EEENS4_IJSJ_SL_SK_EEESQ_SR_lEENS3_INS4_IJSU_SG_SG_EEESW_NS4_IJSN_NSI_IJLi3EEEENSI_IJLi4EEEEEEESO_lEELi128ELi128ELi16ELi4ELi4ELi4ELi1ENSI_IJLi8ELi2EEEES13_NSI_IJLi2ELi1ELi4ELi4EEEENSI_IJLi8ELi1ELi32ELi1EEEENSI_IJLi0ELi3ELi1ELi2EEEES16_NSI_IJLi1ELi1ELi4ELi1EEEES16_NSI_IJLi1ELi1ELi4ELi4EEEES14_S15_S16_S16_S17_S16_S18_NSI_IJLi0ELi1ELi2ELi3ELi4ELi5EEEELi5ELi4EEEaaNS3_INS4_IJSA_SE_SG_SG_NSB_INS4_IJiNS7_IiLi128EEEEEELb0EEENSF_ISC_EEEEENS4_IJSJ_SK_SL_SZ_SP_S10_EEENS4_IJSN_SO_SP_NSI_IJLi6EEEENSI_IJLi7ELi8EEEENSI_IJLi9EEEEEEENSI_IJLi6ELi7ELi8ELi9EEEElEENS3_INS4_IJSU_SE_SG_SG_S1D_S1E_EEENS4_IJSJ_SL_SK_SZ_SP_S10_EEES1K_S1L_lEENS3_INS4_IJSU_SG_SG_NSB_INS4_IJiNS7_IiLi2EEENS7_IiLi64EEEEEELb0EEES1T_EEENS4_IJSJ_SL_SK_SZ_S10_EEENS4_IJSN_SZ_S10_NSI_IJLi5ELi6ELi7EEEENSI_IJLi8ELi9ELi10EEEEEEENSI_IJLi5ELi6ELi7ELi8ELi9ELi10EEEElEENS_31BlockToCTileMap_M00_N00_M01_N01ILi128ELi128ES12_Lb0EEELb1ELb1EEEvPKT0_S25_PT1_T2_T3_T4_T5_ ; -- Begin function _ZN2ck19kernel_gemm_dl_v1r3INS_28GridwiseGemmDl_km_kn_mn_v1r3ILi256EaiaLNS_25InMemoryDataOperationEnumE0ENS_16TensorDescriptorINS_5TupleIJNS_5EmbedINS4_IJiiEEENS4_IJNS_17integral_constantIiLi1EEEiEEELb0EEENS_7UnMergeINS4_IJiNS7_IiLi4EEEEEELb0EEENS_11PassThroughIiEEEEENS4_IJNS_8SequenceIJLi0EEEENSI_IJLi2EEEENSI_IJLi1EEEEEEENS4_IJNSI_IJLi1ELi2EEEENSI_IJLi3ELi4EEEENSI_IJLi5EEEEEEENSI_IJLi3ELi5ELi4EEEElEENS3_INS4_IJNS5_IS6_NS4_IJiS8_EEELb0EEESE_SG_EEENS4_IJSJ_SL_SK_EEESQ_SR_lEENS3_INS4_IJSU_SG_SG_EEESW_NS4_IJSN_NSI_IJLi3EEEENSI_IJLi4EEEEEEESO_lEELi128ELi128ELi16ELi4ELi4ELi4ELi1ENSI_IJLi8ELi2EEEES13_NSI_IJLi2ELi1ELi4ELi4EEEENSI_IJLi8ELi1ELi32ELi1EEEENSI_IJLi0ELi3ELi1ELi2EEEES16_NSI_IJLi1ELi1ELi4ELi1EEEES16_NSI_IJLi1ELi1ELi4ELi4EEEES14_S15_S16_S16_S17_S16_S18_NSI_IJLi0ELi1ELi2ELi3ELi4ELi5EEEELi5ELi4EEEaaNS3_INS4_IJSA_SE_SG_SG_NSB_INS4_IJiNS7_IiLi128EEEEEELb0EEENSF_ISC_EEEEENS4_IJSJ_SK_SL_SZ_SP_S10_EEENS4_IJSN_SO_SP_NSI_IJLi6EEEENSI_IJLi7ELi8EEEENSI_IJLi9EEEEEEENSI_IJLi6ELi7ELi8ELi9EEEElEENS3_INS4_IJSU_SE_SG_SG_S1D_S1E_EEENS4_IJSJ_SL_SK_SZ_SP_S10_EEES1K_S1L_lEENS3_INS4_IJSU_SG_SG_NSB_INS4_IJiNS7_IiLi2EEENS7_IiLi64EEEEEELb0EEES1T_EEENS4_IJSJ_SL_SK_SZ_S10_EEENS4_IJSN_SZ_S10_NSI_IJLi5ELi6ELi7EEEENSI_IJLi8ELi9ELi10EEEEEEENSI_IJLi5ELi6ELi7ELi8ELi9ELi10EEEElEENS_31BlockToCTileMap_M00_N00_M01_N01ILi128ELi128ES12_Lb0EEELb1ELb1EEEvPKT0_S25_PT1_T2_T3_T4_T5_
	.globl	_ZN2ck19kernel_gemm_dl_v1r3INS_28GridwiseGemmDl_km_kn_mn_v1r3ILi256EaiaLNS_25InMemoryDataOperationEnumE0ENS_16TensorDescriptorINS_5TupleIJNS_5EmbedINS4_IJiiEEENS4_IJNS_17integral_constantIiLi1EEEiEEELb0EEENS_7UnMergeINS4_IJiNS7_IiLi4EEEEEELb0EEENS_11PassThroughIiEEEEENS4_IJNS_8SequenceIJLi0EEEENSI_IJLi2EEEENSI_IJLi1EEEEEEENS4_IJNSI_IJLi1ELi2EEEENSI_IJLi3ELi4EEEENSI_IJLi5EEEEEEENSI_IJLi3ELi5ELi4EEEElEENS3_INS4_IJNS5_IS6_NS4_IJiS8_EEELb0EEESE_SG_EEENS4_IJSJ_SL_SK_EEESQ_SR_lEENS3_INS4_IJSU_SG_SG_EEESW_NS4_IJSN_NSI_IJLi3EEEENSI_IJLi4EEEEEEESO_lEELi128ELi128ELi16ELi4ELi4ELi4ELi1ENSI_IJLi8ELi2EEEES13_NSI_IJLi2ELi1ELi4ELi4EEEENSI_IJLi8ELi1ELi32ELi1EEEENSI_IJLi0ELi3ELi1ELi2EEEES16_NSI_IJLi1ELi1ELi4ELi1EEEES16_NSI_IJLi1ELi1ELi4ELi4EEEES14_S15_S16_S16_S17_S16_S18_NSI_IJLi0ELi1ELi2ELi3ELi4ELi5EEEELi5ELi4EEEaaNS3_INS4_IJSA_SE_SG_SG_NSB_INS4_IJiNS7_IiLi128EEEEEELb0EEENSF_ISC_EEEEENS4_IJSJ_SK_SL_SZ_SP_S10_EEENS4_IJSN_SO_SP_NSI_IJLi6EEEENSI_IJLi7ELi8EEEENSI_IJLi9EEEEEEENSI_IJLi6ELi7ELi8ELi9EEEElEENS3_INS4_IJSU_SE_SG_SG_S1D_S1E_EEENS4_IJSJ_SL_SK_SZ_SP_S10_EEES1K_S1L_lEENS3_INS4_IJSU_SG_SG_NSB_INS4_IJiNS7_IiLi2EEENS7_IiLi64EEEEEELb0EEES1T_EEENS4_IJSJ_SL_SK_SZ_S10_EEENS4_IJSN_SZ_S10_NSI_IJLi5ELi6ELi7EEEENSI_IJLi8ELi9ELi10EEEEEEENSI_IJLi5ELi6ELi7ELi8ELi9ELi10EEEElEENS_31BlockToCTileMap_M00_N00_M01_N01ILi128ELi128ES12_Lb0EEELb1ELb1EEEvPKT0_S25_PT1_T2_T3_T4_T5_
	.p2align	8
	.type	_ZN2ck19kernel_gemm_dl_v1r3INS_28GridwiseGemmDl_km_kn_mn_v1r3ILi256EaiaLNS_25InMemoryDataOperationEnumE0ENS_16TensorDescriptorINS_5TupleIJNS_5EmbedINS4_IJiiEEENS4_IJNS_17integral_constantIiLi1EEEiEEELb0EEENS_7UnMergeINS4_IJiNS7_IiLi4EEEEEELb0EEENS_11PassThroughIiEEEEENS4_IJNS_8SequenceIJLi0EEEENSI_IJLi2EEEENSI_IJLi1EEEEEEENS4_IJNSI_IJLi1ELi2EEEENSI_IJLi3ELi4EEEENSI_IJLi5EEEEEEENSI_IJLi3ELi5ELi4EEEElEENS3_INS4_IJNS5_IS6_NS4_IJiS8_EEELb0EEESE_SG_EEENS4_IJSJ_SL_SK_EEESQ_SR_lEENS3_INS4_IJSU_SG_SG_EEESW_NS4_IJSN_NSI_IJLi3EEEENSI_IJLi4EEEEEEESO_lEELi128ELi128ELi16ELi4ELi4ELi4ELi1ENSI_IJLi8ELi2EEEES13_NSI_IJLi2ELi1ELi4ELi4EEEENSI_IJLi8ELi1ELi32ELi1EEEENSI_IJLi0ELi3ELi1ELi2EEEES16_NSI_IJLi1ELi1ELi4ELi1EEEES16_NSI_IJLi1ELi1ELi4ELi4EEEES14_S15_S16_S16_S17_S16_S18_NSI_IJLi0ELi1ELi2ELi3ELi4ELi5EEEELi5ELi4EEEaaNS3_INS4_IJSA_SE_SG_SG_NSB_INS4_IJiNS7_IiLi128EEEEEELb0EEENSF_ISC_EEEEENS4_IJSJ_SK_SL_SZ_SP_S10_EEENS4_IJSN_SO_SP_NSI_IJLi6EEEENSI_IJLi7ELi8EEEENSI_IJLi9EEEEEEENSI_IJLi6ELi7ELi8ELi9EEEElEENS3_INS4_IJSU_SE_SG_SG_S1D_S1E_EEENS4_IJSJ_SL_SK_SZ_SP_S10_EEES1K_S1L_lEENS3_INS4_IJSU_SG_SG_NSB_INS4_IJiNS7_IiLi2EEENS7_IiLi64EEEEEELb0EEES1T_EEENS4_IJSJ_SL_SK_SZ_S10_EEENS4_IJSN_SZ_S10_NSI_IJLi5ELi6ELi7EEEENSI_IJLi8ELi9ELi10EEEEEEENSI_IJLi5ELi6ELi7ELi8ELi9ELi10EEEElEENS_31BlockToCTileMap_M00_N00_M01_N01ILi128ELi128ES12_Lb0EEELb1ELb1EEEvPKT0_S25_PT1_T2_T3_T4_T5_,@function
_ZN2ck19kernel_gemm_dl_v1r3INS_28GridwiseGemmDl_km_kn_mn_v1r3ILi256EaiaLNS_25InMemoryDataOperationEnumE0ENS_16TensorDescriptorINS_5TupleIJNS_5EmbedINS4_IJiiEEENS4_IJNS_17integral_constantIiLi1EEEiEEELb0EEENS_7UnMergeINS4_IJiNS7_IiLi4EEEEEELb0EEENS_11PassThroughIiEEEEENS4_IJNS_8SequenceIJLi0EEEENSI_IJLi2EEEENSI_IJLi1EEEEEEENS4_IJNSI_IJLi1ELi2EEEENSI_IJLi3ELi4EEEENSI_IJLi5EEEEEEENSI_IJLi3ELi5ELi4EEEElEENS3_INS4_IJNS5_IS6_NS4_IJiS8_EEELb0EEESE_SG_EEENS4_IJSJ_SL_SK_EEESQ_SR_lEENS3_INS4_IJSU_SG_SG_EEESW_NS4_IJSN_NSI_IJLi3EEEENSI_IJLi4EEEEEEESO_lEELi128ELi128ELi16ELi4ELi4ELi4ELi1ENSI_IJLi8ELi2EEEES13_NSI_IJLi2ELi1ELi4ELi4EEEENSI_IJLi8ELi1ELi32ELi1EEEENSI_IJLi0ELi3ELi1ELi2EEEES16_NSI_IJLi1ELi1ELi4ELi1EEEES16_NSI_IJLi1ELi1ELi4ELi4EEEES14_S15_S16_S16_S17_S16_S18_NSI_IJLi0ELi1ELi2ELi3ELi4ELi5EEEELi5ELi4EEEaaNS3_INS4_IJSA_SE_SG_SG_NSB_INS4_IJiNS7_IiLi128EEEEEELb0EEENSF_ISC_EEEEENS4_IJSJ_SK_SL_SZ_SP_S10_EEENS4_IJSN_SO_SP_NSI_IJLi6EEEENSI_IJLi7ELi8EEEENSI_IJLi9EEEEEEENSI_IJLi6ELi7ELi8ELi9EEEElEENS3_INS4_IJSU_SE_SG_SG_S1D_S1E_EEENS4_IJSJ_SL_SK_SZ_SP_S10_EEES1K_S1L_lEENS3_INS4_IJSU_SG_SG_NSB_INS4_IJiNS7_IiLi2EEENS7_IiLi64EEEEEELb0EEES1T_EEENS4_IJSJ_SL_SK_SZ_S10_EEENS4_IJSN_SZ_S10_NSI_IJLi5ELi6ELi7EEEENSI_IJLi8ELi9ELi10EEEEEEENSI_IJLi5ELi6ELi7ELi8ELi9ELi10EEEElEENS_31BlockToCTileMap_M00_N00_M01_N01ILi128ELi128ES12_Lb0EEELb1ELb1EEEvPKT0_S25_PT1_T2_T3_T4_T5_: ; @_ZN2ck19kernel_gemm_dl_v1r3INS_28GridwiseGemmDl_km_kn_mn_v1r3ILi256EaiaLNS_25InMemoryDataOperationEnumE0ENS_16TensorDescriptorINS_5TupleIJNS_5EmbedINS4_IJiiEEENS4_IJNS_17integral_constantIiLi1EEEiEEELb0EEENS_7UnMergeINS4_IJiNS7_IiLi4EEEEEELb0EEENS_11PassThroughIiEEEEENS4_IJNS_8SequenceIJLi0EEEENSI_IJLi2EEEENSI_IJLi1EEEEEEENS4_IJNSI_IJLi1ELi2EEEENSI_IJLi3ELi4EEEENSI_IJLi5EEEEEEENSI_IJLi3ELi5ELi4EEEElEENS3_INS4_IJNS5_IS6_NS4_IJiS8_EEELb0EEESE_SG_EEENS4_IJSJ_SL_SK_EEESQ_SR_lEENS3_INS4_IJSU_SG_SG_EEESW_NS4_IJSN_NSI_IJLi3EEEENSI_IJLi4EEEEEEESO_lEELi128ELi128ELi16ELi4ELi4ELi4ELi1ENSI_IJLi8ELi2EEEES13_NSI_IJLi2ELi1ELi4ELi4EEEENSI_IJLi8ELi1ELi32ELi1EEEENSI_IJLi0ELi3ELi1ELi2EEEES16_NSI_IJLi1ELi1ELi4ELi1EEEES16_NSI_IJLi1ELi1ELi4ELi4EEEES14_S15_S16_S16_S17_S16_S18_NSI_IJLi0ELi1ELi2ELi3ELi4ELi5EEEELi5ELi4EEEaaNS3_INS4_IJSA_SE_SG_SG_NSB_INS4_IJiNS7_IiLi128EEEEEELb0EEENSF_ISC_EEEEENS4_IJSJ_SK_SL_SZ_SP_S10_EEENS4_IJSN_SO_SP_NSI_IJLi6EEEENSI_IJLi7ELi8EEEENSI_IJLi9EEEEEEENSI_IJLi6ELi7ELi8ELi9EEEElEENS3_INS4_IJSU_SE_SG_SG_S1D_S1E_EEENS4_IJSJ_SL_SK_SZ_SP_S10_EEES1K_S1L_lEENS3_INS4_IJSU_SG_SG_NSB_INS4_IJiNS7_IiLi2EEENS7_IiLi64EEEEEELb0EEES1T_EEENS4_IJSJ_SL_SK_SZ_S10_EEENS4_IJSN_SZ_S10_NSI_IJLi5ELi6ELi7EEEENSI_IJLi8ELi9ELi10EEEEEEENSI_IJLi5ELi6ELi7ELi8ELi9ELi10EEEElEENS_31BlockToCTileMap_M00_N00_M01_N01ILi128ELi128ES12_Lb0EEELb1ELb1EEEvPKT0_S25_PT1_T2_T3_T4_T5_
; %bb.0:
	s_clause 0x5
	s_load_dwordx4 s[20:23], s[4:5], 0x11c
	s_load_dwordx4 s[12:15], s[4:5], 0x130
	;; [unrolled: 1-line block ×3, first 2 shown]
	s_load_dword s28, s[4:5], 0x60
	s_load_dword s1, s[4:5], 0xfc
	s_load_dwordx4 s[16:19], s[4:5], 0x0
	v_lshrrev_b32_e32 v1, 4, v0
	v_lshlrev_b32_e32 v5, 2, v0
	s_mov_b32 s11, 0x31014000
	v_mov_b32_e32 v45, 0
	v_mov_b32_e32 v70, 0
	v_and_b32_e32 v3, 14, v1
	v_and_b32_e32 v112, 0x7c, v5
	v_mov_b32_e32 v72, 0
	v_mov_b32_e32 v64, 0
	;; [unrolled: 1-line block ×3, first 2 shown]
	v_lshlrev_b32_e32 v4, 2, v3
	v_mov_b32_e32 v75, 0
	v_mov_b32_e32 v76, 0
	;; [unrolled: 1-line block ×3, first 2 shown]
	s_waitcnt lgkmcnt(0)
	s_mul_hi_u32 s0, s23, s6
	s_mov_b32 s23, s11
	s_add_i32 s0, s6, s0
	v_mul_lo_u32 v1, s28, v4
	s_lshr_b32 s8, s0, s15
	v_or_b32_e32 v40, 7, v4
	s_mul_hi_u32 s0, s8, s22
	v_or_b32_e32 v44, 0x84, v4
	s_add_i32 s0, s8, s0
	v_or_b32_e32 v113, 0x85, v4
	s_lshr_b32 s9, s0, s14
	s_clause 0x3
	s_load_dword s29, s[4:5], 0x24
	s_load_dword s14, s[4:5], 0x90
	;; [unrolled: 1-line block ×3, first 2 shown]
	s_load_dwordx2 s[2:3], s[4:5], 0xd0
	s_mul_hi_u32 s0, s9, s21
	s_waitcnt lgkmcnt(0)
	s_clause 0x1
	s_load_dword s3, s[4:5], 0xec
	s_load_dword s10, s[4:5], 0x50
	s_add_i32 s0, s9, s0
	v_or_b32_e32 v114, 0x86, v4
	s_lshr_b32 s15, s0, s13
	s_mul_i32 s13, s8, s27
	s_mul_i32 s0, s15, s25
	s_sub_i32 s6, s6, s13
	s_sub_i32 s0, s9, s0
	s_mul_i32 s9, s9, s26
	s_mul_i32 s0, s0, s1
	s_sub_i32 s8, s8, s9
	s_add_i32 s6, s6, s0
	s_load_dwordx2 s[0:1], s[4:5], 0x10
	s_and_b32 s13, s19, 0xffff
	s_mul_hi_u32 s19, s15, s20
	s_lshl_b32 s6, s6, 7
	s_add_i32 s19, s15, s19
	v_add3_u32 v2, v1, v112, s6
	s_lshr_b32 s12, s19, s12
	s_mov_b32 s20, s18
	s_mul_i32 s12, s12, s24
	s_mov_b32 s22, s14
	s_sub_i32 s12, s15, s12
	v_add_nc_u32_e32 v6, s28, v2
	s_waitcnt lgkmcnt(0)
	s_mul_i32 s12, s12, s3
	s_mov_b32 s21, s13
	s_add_i32 s8, s8, s12
	s_lshl_b32 s3, s28, 2
	s_lshl_b32 s24, s8, 7
	v_add_nc_u32_e32 v7, s28, v6
	v_or_b32_e32 v1, s24, v112
	s_clause 0x1
	buffer_load_dword v14, v2, s[20:23], 0 offen
	buffer_load_dword v15, v6, s[20:23], 0 offen
	v_add_nc_u32_e32 v9, s3, v2
	v_add_nc_u32_e32 v6, s3, v6
	;; [unrolled: 1-line block ×3, first 2 shown]
	v_mad_u64_u32 v[1:2], null, s29, v4, v[1:2]
	s_clause 0x1
	buffer_load_dword v20, v7, s[20:23], 0 offen
	buffer_load_dword v21, v8, s[20:23], 0 offen
	v_add_nc_u32_e32 v2, s3, v7
	v_add_nc_u32_e32 v7, s3, v8
	s_clause 0x3
	buffer_load_dword v28, v6, s[20:23], 0 offen
	buffer_load_dword v29, v9, s[20:23], 0 offen
	;; [unrolled: 1-line block ×4, first 2 shown]
	v_add_nc_u32_e32 v2, s29, v1
	s_and_b32 s9, s17, 0xffff
	s_mov_b32 s20, s16
	s_mov_b32 s22, s10
	;; [unrolled: 1-line block ×3, first 2 shown]
	v_add_nc_u32_e32 v6, s29, v2
	s_load_dword s5, s[4:5], 0x38
	s_lshl_b32 s4, s29, 2
	v_or_b32_e32 v115, 0x87, v4
	v_or_b32_e32 v41, 6, v4
	v_add_nc_u32_e32 v7, s29, v6
	s_clause 0x3
	buffer_load_dword v32, v1, s[20:23], 0 offen
	buffer_load_dword v33, v2, s[20:23], 0 offen
	;; [unrolled: 1-line block ×4, first 2 shown]
	v_add_nc_u32_e32 v2, s4, v2
	v_add_nc_u32_e32 v1, s4, v1
	;; [unrolled: 1-line block ×4, first 2 shown]
	s_clause 0x3
	buffer_load_dword v36, v2, s[20:23], 0 offen
	buffer_load_dword v37, v1, s[20:23], 0 offen
	;; [unrolled: 1-line block ×4, first 2 shown]
	v_lshrrev_b32_e32 v1, 5, v0
	v_lshlrev_b32_e32 v0, 1, v0
	v_lshlrev_b32_e32 v7, 2, v112
	v_or_b32_e32 v42, 5, v4
	v_or_b32_e32 v43, 4, v4
	v_lshlrev_b32_e32 v2, 6, v1
	v_and_b32_e32 v6, 0x1f8, v0
	v_lshlrev_b32_e32 v1, 3, v1
	v_or_b32_e32 v116, 0x83, v4
	v_or_b32_e32 v117, 0x82, v4
	;; [unrolled: 1-line block ×3, first 2 shown]
	v_sub_nc_u32_e32 v2, v6, v2
	v_or_b32_e32 v119, 0x80, v4
	v_or_b32_e32 v120, 0x44, v4
	;; [unrolled: 1-line block ×4, first 2 shown]
	v_and_or_b32 v106, v5, 4, v2
	v_or_b32_e32 v123, 0x47, v4
	v_or_b32_e32 v124, 0x43, v4
	;; [unrolled: 1-line block ×5, first 2 shown]
	v_mad_u64_u32 v[4:5], null, s28, v40, s[6:7]
	v_mad_u64_u32 v[5:6], null, s28, v44, s[6:7]
	v_lshl_or_b32 v111, v3, 9, v7
	v_mad_u64_u32 v[6:7], null, s28, v113, s[6:7]
	v_mad_u64_u32 v[7:8], null, s28, v114, s[6:7]
	;; [unrolled: 1-line block ×3, first 2 shown]
	v_and_or_b32 v110, v0, 4, v1
	v_mad_u64_u32 v[0:1], null, s28, v41, s[6:7]
	v_mad_u64_u32 v[9:10], null, s28, v116, s[6:7]
	;; [unrolled: 1-line block ×10, first 2 shown]
	v_mov_b32_e32 v66, 0
	v_mov_b32_e32 v69, 0
	;; [unrolled: 1-line block ×56, first 2 shown]
	s_mov_b32 s15, s11
	s_mov_b32 s8, s16
	;; [unrolled: 1-line block ×3, first 2 shown]
	s_waitcnt lgkmcnt(0)
	s_sub_i32 s5, s5, 32
	s_lshl_b32 s16, s28, 7
	s_lshl_b32 s17, s29, 7
	s_waitcnt vmcnt(14)
	v_perm_b32 v3, v14, v15, 0xc0c0004
	v_perm_b32 v13, v14, v15, 0xc0c0105
	;; [unrolled: 1-line block ×4, first 2 shown]
	s_waitcnt vmcnt(12)
	v_perm_b32 v22, v20, v21, 0xc0c0004
	v_perm_b32 v23, v20, v21, 0xc0c0105
	;; [unrolled: 1-line block ×4, first 2 shown]
	v_lshl_or_b32 v24, v22, 16, v3
	v_mad_u64_u32 v[21:22], null, s28, v123, s[6:7]
	v_lshl_or_b32 v25, v23, 16, v13
	v_mad_u64_u32 v[22:23], null, s28, v124, s[6:7]
	v_lshl_or_b32 v26, v15, 16, v19
	v_lshl_or_b32 v27, v20, 16, v14
	s_waitcnt vmcnt(10)
	v_perm_b32 v3, v29, v28, 0xc0c0004
	v_perm_b32 v13, v29, v28, 0xc0c0105
	;; [unrolled: 1-line block ×3, first 2 shown]
	s_waitcnt vmcnt(8)
	v_perm_b32 v15, v31, v30, 0xc0c0004
	v_perm_b32 v19, v31, v30, 0xc0c0105
	;; [unrolled: 1-line block ×5, first 2 shown]
	ds_write_b128 v111, v[24:27] offset:16384
	v_lshl_or_b32 v27, v15, 16, v3
	v_lshl_or_b32 v28, v19, 16, v13
	;; [unrolled: 1-line block ×4, first 2 shown]
	v_mad_u64_u32 v[13:14], null, s29, v41, s[24:25]
	v_mad_u64_u32 v[25:26], null, s28, v125, s[6:7]
	;; [unrolled: 1-line block ×3, first 2 shown]
	s_waitcnt vmcnt(6)
	v_perm_b32 v3, v32, v33, 0xc0c0004
	v_perm_b32 v14, v32, v33, 0xc0c0105
	s_waitcnt vmcnt(4)
	v_perm_b32 v15, v34, v35, 0xc0c0004
	v_perm_b32 v19, v34, v35, 0xc0c0105
	ds_write_b128 v111, v[27:30] offset:16896
	v_perm_b32 v24, v32, v33, 0xc0c0206
	v_perm_b32 v26, v32, v33, 0xc0c0307
	v_perm_b32 v27, v34, v35, 0xc0c0206
	v_perm_b32 v31, v34, v35, 0xc0c0307
	v_lshl_or_b32 v28, v15, 16, v3
	v_lshl_or_b32 v29, v19, 16, v14
	v_mad_u64_u32 v[14:15], null, s29, v42, s[24:25]
	v_mad_u64_u32 v[19:20], null, s29, v43, s[24:25]
	v_lshl_or_b32 v30, v27, 16, v24
	v_lshl_or_b32 v31, v31, 16, v26
	s_waitcnt vmcnt(2)
	v_perm_b32 v3, v37, v36, 0xc0c0004
	v_perm_b32 v15, v37, v36, 0xc0c0105
	s_waitcnt vmcnt(0)
	v_perm_b32 v20, v39, v38, 0xc0c0004
	v_perm_b32 v24, v39, v38, 0xc0c0105
	ds_write_b128 v111, v[28:31]
	v_perm_b32 v31, v37, v36, 0xc0c0206
	v_perm_b32 v33, v37, v36, 0xc0c0307
	v_lshl_or_b32 v35, v20, 16, v3
	v_lshl_or_b32 v36, v24, 16, v15
	v_perm_b32 v3, v39, v38, 0xc0c0206
	v_perm_b32 v15, v39, v38, 0xc0c0307
	v_mad_u64_u32 v[26:27], null, s29, v44, s[24:25]
	v_mad_u64_u32 v[27:28], null, s29, v113, s[24:25]
	;; [unrolled: 1-line block ×4, first 2 shown]
	v_lshl_or_b32 v37, v3, 16, v31
	v_lshl_or_b32 v38, v15, 16, v33
	v_mad_u64_u32 v[30:31], null, s29, v116, s[24:25]
	v_mad_u64_u32 v[31:32], null, s29, v117, s[24:25]
	;; [unrolled: 1-line block ×4, first 2 shown]
	ds_write_b128 v111, v[35:38] offset:512
	v_mad_u64_u32 v[34:35], null, s29, v120, s[24:25]
	v_mad_u64_u32 v[35:36], null, s29, v121, s[24:25]
	;; [unrolled: 1-line block ×10, first 2 shown]
	v_lshlrev_b32_e32 v3, 2, v110
	v_lshlrev_b32_e32 v15, 2, v106
	v_mov_b32_e32 v20, 0
.LBB1_1:                                ; =>This Inner Loop Header: Depth=1
	v_add_nc_u32_e32 v24, v112, v43
	v_add_nc_u32_e32 v44, v112, v18
	;; [unrolled: 1-line block ×5, first 2 shown]
	buffer_load_dword v123, v24, s[8:11], 0 offen
	v_add_nc_u32_e32 v24, v112, v41
	v_add_nc_u32_e32 v4, s16, v4
	;; [unrolled: 1-line block ×3, first 2 shown]
	v_cmp_gt_i32_e32 vcc_lo, s5, v20
	v_add_nc_u32_e32 v1, s16, v1
	buffer_load_dword v124, v24, s[8:11], 0 offen
	v_add_nc_u32_e32 v24, v112, v39
	v_add_nc_u32_e32 v2, s16, v2
	v_add_nc_u32_e32 v16, s16, v16
	v_add_nc_u32_e32 v17, s16, v17
	v_add_nc_u32_e32 v18, s16, v18
	buffer_load_dword v125, v24, s[8:11], 0 offen
	v_add_nc_u32_e32 v24, v112, v38
	v_add_nc_u32_e32 v23, s17, v23
	v_add_nc_u32_e32 v13, s17, v13
	v_add_nc_u32_e32 v14, s17, v14
	;; [unrolled: 6-line block ×3, first 2 shown]
	v_add_nc_u32_e32 v41, s17, v41
	buffer_load_dword v118, v24, s[8:11], 0 offen
	v_add_nc_u32_e32 v24, v112, v36
	v_add_nc_u32_e32 v36, s17, v36
	v_add_nc_u32_e32 v43, s17, v43
	s_and_b32 vcc_lo, exec_lo, vcc_lo
	buffer_load_dword v44, v44, s[12:15], 0 offen
	buffer_load_dword v120, v24, s[8:11], 0 offen
	v_add_nc_u32_e32 v24, v112, v35
	v_add_nc_u32_e32 v35, s17, v35
	s_clause 0x1
	buffer_load_dword v113, v113, s[12:15], 0 offen
	buffer_load_dword v114, v114, s[12:15], 0 offen
	;; [unrolled: 1-line block ×3, first 2 shown]
	v_add_nc_u32_e32 v24, v112, v34
	v_add_nc_u32_e32 v34, s17, v34
	buffer_load_dword v122, v24, s[8:11], 0 offen
	v_add_nc_u32_e32 v24, v112, v42
	v_add_nc_u32_e32 v42, s16, v42
	buffer_load_dword v115, v24, s[12:15], 0 offen
	;; [unrolled: 3-line block ×6, first 2 shown]
	s_waitcnt lgkmcnt(0)
	s_barrier
	ds_read_b128 v[127:130], v3
	ds_read_b128 v[131:134], v15 offset:16384
	ds_read_b128 v[135:138], v15 offset:16640
	ds_read_b128 v[139:142], v3 offset:256
	s_waitcnt lgkmcnt(2)
	v_dot4c_i32_i8 v107, v127, v131
	v_dot4c_i32_i8 v109, v127, v132
	v_dot4c_i32_i8 v108, v127, v133
	v_dot4c_i32_i8 v104, v127, v134
	v_dot4c_i32_i8 v94, v128, v131
	v_dot4c_i32_i8 v98, v128, v132
	v_dot4c_i32_i8 v97, v128, v133
	v_dot4c_i32_i8 v93, v128, v134
	v_dot4c_i32_i8 v90, v129, v131
	v_dot4c_i32_i8 v92, v129, v132
	v_dot4c_i32_i8 v91, v129, v133
	v_dot4c_i32_i8 v89, v129, v134
	v_dot4c_i32_i8 v78, v130, v131
	v_dot4c_i32_i8 v81, v130, v132
	v_dot4c_i32_i8 v79, v130, v133
	v_dot4c_i32_i8 v77, v130, v134
	s_waitcnt lgkmcnt(1)
	v_dot4c_i32_i8 v102, v127, v135
	v_dot4c_i32_i8 v105, v127, v136
	v_dot4c_i32_i8 v103, v127, v137
	v_dot4c_i32_i8 v101, v127, v138
	v_dot4c_i32_i8 v96, v128, v135
	v_dot4c_i32_i8 v100, v128, v136
	v_dot4c_i32_i8 v99, v128, v137
	v_dot4c_i32_i8 v95, v128, v138
	v_dot4c_i32_i8 v86, v129, v135
	v_dot4c_i32_i8 v88, v129, v136
	v_dot4c_i32_i8 v87, v129, v137
	v_dot4c_i32_i8 v85, v129, v138
	v_dot4c_i32_i8 v82, v130, v135
	v_dot4c_i32_i8 v84, v130, v136
	v_dot4c_i32_i8 v83, v130, v137
	v_dot4c_i32_i8 v80, v130, v138
	;; [unrolled: 17-line block ×3, first 2 shown]
	v_dot4c_i32_i8 v48, v139, v135
	v_dot4c_i32_i8 v55, v139, v136
	;; [unrolled: 1-line block ×16, first 2 shown]
	ds_read_b128 v[127:130], v3 offset:512
	ds_read_b128 v[131:134], v15 offset:16896
	;; [unrolled: 1-line block ×4, first 2 shown]
	s_waitcnt lgkmcnt(2)
	v_dot4c_i32_i8 v107, v127, v131
	v_dot4c_i32_i8 v109, v127, v132
	v_dot4c_i32_i8 v108, v127, v133
	v_dot4c_i32_i8 v104, v127, v134
	v_dot4c_i32_i8 v94, v128, v131
	v_dot4c_i32_i8 v98, v128, v132
	v_dot4c_i32_i8 v97, v128, v133
	v_dot4c_i32_i8 v93, v128, v134
	v_dot4c_i32_i8 v90, v129, v131
	v_dot4c_i32_i8 v92, v129, v132
	v_dot4c_i32_i8 v91, v129, v133
	v_dot4c_i32_i8 v89, v129, v134
	v_dot4c_i32_i8 v78, v130, v131
	v_dot4c_i32_i8 v81, v130, v132
	v_dot4c_i32_i8 v79, v130, v133
	v_dot4c_i32_i8 v77, v130, v134
	s_waitcnt lgkmcnt(1)
	v_dot4c_i32_i8 v102, v127, v135
	v_dot4c_i32_i8 v105, v127, v136
	v_dot4c_i32_i8 v103, v127, v137
	v_dot4c_i32_i8 v101, v127, v138
	v_dot4c_i32_i8 v96, v128, v135
	v_dot4c_i32_i8 v100, v128, v136
	v_dot4c_i32_i8 v99, v128, v137
	v_dot4c_i32_i8 v95, v128, v138
	v_dot4c_i32_i8 v86, v129, v135
	v_dot4c_i32_i8 v88, v129, v136
	v_dot4c_i32_i8 v87, v129, v137
	v_dot4c_i32_i8 v85, v129, v138
	v_dot4c_i32_i8 v82, v130, v135
	v_dot4c_i32_i8 v84, v130, v136
	v_dot4c_i32_i8 v83, v130, v137
	v_dot4c_i32_i8 v80, v130, v138
	;; [unrolled: 17-line block ×3, first 2 shown]
	v_dot4c_i32_i8 v48, v139, v135
	v_dot4c_i32_i8 v55, v139, v136
	;; [unrolled: 1-line block ×16, first 2 shown]
	ds_read_b128 v[127:130], v3 offset:1024
	ds_read_b128 v[131:134], v15 offset:17408
	;; [unrolled: 1-line block ×4, first 2 shown]
	s_waitcnt lgkmcnt(2)
	v_dot4c_i32_i8 v107, v127, v131
	v_dot4c_i32_i8 v109, v127, v132
	v_dot4c_i32_i8 v108, v127, v133
	v_dot4c_i32_i8 v104, v127, v134
	v_dot4c_i32_i8 v94, v128, v131
	v_dot4c_i32_i8 v98, v128, v132
	v_dot4c_i32_i8 v97, v128, v133
	v_dot4c_i32_i8 v93, v128, v134
	v_dot4c_i32_i8 v90, v129, v131
	v_dot4c_i32_i8 v92, v129, v132
	v_dot4c_i32_i8 v91, v129, v133
	v_dot4c_i32_i8 v89, v129, v134
	v_dot4c_i32_i8 v78, v130, v131
	v_dot4c_i32_i8 v81, v130, v132
	v_dot4c_i32_i8 v79, v130, v133
	v_dot4c_i32_i8 v77, v130, v134
	s_waitcnt lgkmcnt(1)
	v_dot4c_i32_i8 v102, v127, v135
	v_dot4c_i32_i8 v105, v127, v136
	v_dot4c_i32_i8 v103, v127, v137
	v_dot4c_i32_i8 v101, v127, v138
	v_dot4c_i32_i8 v96, v128, v135
	v_dot4c_i32_i8 v100, v128, v136
	v_dot4c_i32_i8 v99, v128, v137
	v_dot4c_i32_i8 v95, v128, v138
	v_dot4c_i32_i8 v86, v129, v135
	v_dot4c_i32_i8 v88, v129, v136
	v_dot4c_i32_i8 v87, v129, v137
	v_dot4c_i32_i8 v85, v129, v138
	v_dot4c_i32_i8 v82, v130, v135
	v_dot4c_i32_i8 v84, v130, v136
	v_dot4c_i32_i8 v83, v130, v137
	v_dot4c_i32_i8 v80, v130, v138
	;; [unrolled: 17-line block ×3, first 2 shown]
	v_dot4c_i32_i8 v48, v139, v135
	v_dot4c_i32_i8 v55, v139, v136
	;; [unrolled: 1-line block ×16, first 2 shown]
	ds_read_b128 v[127:130], v3 offset:1536
	ds_read_b128 v[131:134], v15 offset:17920
	;; [unrolled: 1-line block ×4, first 2 shown]
	s_waitcnt lgkmcnt(2)
	v_dot4c_i32_i8 v107, v127, v131
	v_dot4c_i32_i8 v109, v127, v132
	v_dot4c_i32_i8 v108, v127, v133
	v_dot4c_i32_i8 v104, v127, v134
	v_dot4c_i32_i8 v94, v128, v131
	v_dot4c_i32_i8 v98, v128, v132
	v_dot4c_i32_i8 v97, v128, v133
	v_dot4c_i32_i8 v93, v128, v134
	v_dot4c_i32_i8 v90, v129, v131
	v_dot4c_i32_i8 v92, v129, v132
	v_dot4c_i32_i8 v91, v129, v133
	v_dot4c_i32_i8 v89, v129, v134
	v_dot4c_i32_i8 v78, v130, v131
	v_dot4c_i32_i8 v81, v130, v132
	v_dot4c_i32_i8 v79, v130, v133
	v_dot4c_i32_i8 v77, v130, v134
	s_waitcnt lgkmcnt(1)
	v_dot4c_i32_i8 v102, v127, v135
	v_dot4c_i32_i8 v105, v127, v136
	v_dot4c_i32_i8 v103, v127, v137
	v_dot4c_i32_i8 v101, v127, v138
	v_dot4c_i32_i8 v96, v128, v135
	v_dot4c_i32_i8 v100, v128, v136
	v_dot4c_i32_i8 v99, v128, v137
	v_dot4c_i32_i8 v95, v128, v138
	v_dot4c_i32_i8 v86, v129, v135
	v_dot4c_i32_i8 v88, v129, v136
	v_dot4c_i32_i8 v87, v129, v137
	v_dot4c_i32_i8 v85, v129, v138
	v_dot4c_i32_i8 v82, v130, v135
	v_dot4c_i32_i8 v84, v130, v136
	v_dot4c_i32_i8 v83, v130, v137
	v_dot4c_i32_i8 v80, v130, v138
	;; [unrolled: 17-line block ×3, first 2 shown]
	v_dot4c_i32_i8 v48, v139, v135
	v_dot4c_i32_i8 v55, v139, v136
	;; [unrolled: 1-line block ×16, first 2 shown]
	ds_read_b128 v[127:130], v3 offset:2048
	ds_read_b128 v[131:134], v15 offset:18432
	;; [unrolled: 1-line block ×4, first 2 shown]
	s_waitcnt lgkmcnt(2)
	v_dot4c_i32_i8 v107, v127, v131
	v_dot4c_i32_i8 v109, v127, v132
	v_dot4c_i32_i8 v108, v127, v133
	v_dot4c_i32_i8 v104, v127, v134
	v_dot4c_i32_i8 v94, v128, v131
	v_dot4c_i32_i8 v98, v128, v132
	v_dot4c_i32_i8 v97, v128, v133
	v_dot4c_i32_i8 v93, v128, v134
	v_dot4c_i32_i8 v90, v129, v131
	v_dot4c_i32_i8 v92, v129, v132
	v_dot4c_i32_i8 v91, v129, v133
	v_dot4c_i32_i8 v89, v129, v134
	v_dot4c_i32_i8 v78, v130, v131
	v_dot4c_i32_i8 v81, v130, v132
	v_dot4c_i32_i8 v79, v130, v133
	v_dot4c_i32_i8 v77, v130, v134
	s_waitcnt lgkmcnt(1)
	v_dot4c_i32_i8 v102, v127, v135
	v_dot4c_i32_i8 v105, v127, v136
	v_dot4c_i32_i8 v103, v127, v137
	v_dot4c_i32_i8 v101, v127, v138
	v_dot4c_i32_i8 v96, v128, v135
	v_dot4c_i32_i8 v100, v128, v136
	v_dot4c_i32_i8 v99, v128, v137
	v_dot4c_i32_i8 v95, v128, v138
	v_dot4c_i32_i8 v86, v129, v135
	v_dot4c_i32_i8 v88, v129, v136
	v_dot4c_i32_i8 v87, v129, v137
	v_dot4c_i32_i8 v85, v129, v138
	v_dot4c_i32_i8 v82, v130, v135
	v_dot4c_i32_i8 v84, v130, v136
	v_dot4c_i32_i8 v83, v130, v137
	v_dot4c_i32_i8 v80, v130, v138
	;; [unrolled: 17-line block ×3, first 2 shown]
	v_dot4c_i32_i8 v48, v139, v135
	v_dot4c_i32_i8 v55, v139, v136
	;; [unrolled: 1-line block ×16, first 2 shown]
	ds_read_b128 v[127:130], v3 offset:2560
	ds_read_b128 v[131:134], v15 offset:18944
	;; [unrolled: 1-line block ×4, first 2 shown]
	s_waitcnt lgkmcnt(2)
	v_dot4c_i32_i8 v107, v127, v131
	v_dot4c_i32_i8 v109, v127, v132
	v_dot4c_i32_i8 v108, v127, v133
	v_dot4c_i32_i8 v104, v127, v134
	v_dot4c_i32_i8 v94, v128, v131
	v_dot4c_i32_i8 v98, v128, v132
	v_dot4c_i32_i8 v97, v128, v133
	v_dot4c_i32_i8 v93, v128, v134
	v_dot4c_i32_i8 v90, v129, v131
	v_dot4c_i32_i8 v92, v129, v132
	v_dot4c_i32_i8 v91, v129, v133
	v_dot4c_i32_i8 v89, v129, v134
	v_dot4c_i32_i8 v78, v130, v131
	v_dot4c_i32_i8 v81, v130, v132
	v_dot4c_i32_i8 v79, v130, v133
	v_dot4c_i32_i8 v77, v130, v134
	s_waitcnt lgkmcnt(1)
	v_dot4c_i32_i8 v102, v127, v135
	v_dot4c_i32_i8 v105, v127, v136
	v_dot4c_i32_i8 v103, v127, v137
	v_dot4c_i32_i8 v101, v127, v138
	v_dot4c_i32_i8 v96, v128, v135
	v_dot4c_i32_i8 v100, v128, v136
	v_dot4c_i32_i8 v99, v128, v137
	v_dot4c_i32_i8 v95, v128, v138
	v_dot4c_i32_i8 v86, v129, v135
	v_dot4c_i32_i8 v88, v129, v136
	v_dot4c_i32_i8 v87, v129, v137
	v_dot4c_i32_i8 v85, v129, v138
	v_dot4c_i32_i8 v82, v130, v135
	v_dot4c_i32_i8 v84, v130, v136
	v_dot4c_i32_i8 v83, v130, v137
	v_dot4c_i32_i8 v80, v130, v138
	;; [unrolled: 17-line block ×3, first 2 shown]
	v_dot4c_i32_i8 v48, v139, v135
	v_dot4c_i32_i8 v55, v139, v136
	;; [unrolled: 1-line block ×16, first 2 shown]
	ds_read_b128 v[127:130], v3 offset:3072
	ds_read_b128 v[131:134], v15 offset:19456
	ds_read_b128 v[135:138], v15 offset:19712
	ds_read_b128 v[139:142], v3 offset:3328
	s_waitcnt lgkmcnt(2)
	v_dot4c_i32_i8 v107, v127, v131
	v_dot4c_i32_i8 v109, v127, v132
	v_dot4c_i32_i8 v108, v127, v133
	v_dot4c_i32_i8 v104, v127, v134
	v_dot4c_i32_i8 v94, v128, v131
	v_dot4c_i32_i8 v98, v128, v132
	v_dot4c_i32_i8 v97, v128, v133
	v_dot4c_i32_i8 v93, v128, v134
	v_dot4c_i32_i8 v90, v129, v131
	v_dot4c_i32_i8 v92, v129, v132
	v_dot4c_i32_i8 v91, v129, v133
	v_dot4c_i32_i8 v89, v129, v134
	v_dot4c_i32_i8 v78, v130, v131
	v_dot4c_i32_i8 v81, v130, v132
	v_dot4c_i32_i8 v79, v130, v133
	v_dot4c_i32_i8 v77, v130, v134
	s_waitcnt lgkmcnt(1)
	v_dot4c_i32_i8 v102, v127, v135
	v_dot4c_i32_i8 v105, v127, v136
	v_dot4c_i32_i8 v103, v127, v137
	v_dot4c_i32_i8 v101, v127, v138
	v_dot4c_i32_i8 v96, v128, v135
	v_dot4c_i32_i8 v100, v128, v136
	v_dot4c_i32_i8 v99, v128, v137
	v_dot4c_i32_i8 v95, v128, v138
	v_dot4c_i32_i8 v86, v129, v135
	v_dot4c_i32_i8 v88, v129, v136
	v_dot4c_i32_i8 v87, v129, v137
	v_dot4c_i32_i8 v85, v129, v138
	v_dot4c_i32_i8 v82, v130, v135
	v_dot4c_i32_i8 v84, v130, v136
	v_dot4c_i32_i8 v83, v130, v137
	v_dot4c_i32_i8 v80, v130, v138
	;; [unrolled: 17-line block ×3, first 2 shown]
	v_dot4c_i32_i8 v48, v139, v135
	v_dot4c_i32_i8 v55, v139, v136
	;; [unrolled: 1-line block ×16, first 2 shown]
	ds_read_b128 v[127:130], v3 offset:3584
	ds_read_b128 v[131:134], v15 offset:19968
	;; [unrolled: 1-line block ×4, first 2 shown]
	s_waitcnt lgkmcnt(2)
	v_dot4c_i32_i8 v107, v127, v131
	v_dot4c_i32_i8 v109, v127, v132
	v_dot4c_i32_i8 v108, v127, v133
	v_dot4c_i32_i8 v104, v127, v134
	v_dot4c_i32_i8 v94, v128, v131
	v_dot4c_i32_i8 v98, v128, v132
	v_dot4c_i32_i8 v97, v128, v133
	v_dot4c_i32_i8 v93, v128, v134
	v_dot4c_i32_i8 v90, v129, v131
	v_dot4c_i32_i8 v92, v129, v132
	v_dot4c_i32_i8 v91, v129, v133
	v_dot4c_i32_i8 v89, v129, v134
	v_dot4c_i32_i8 v78, v130, v131
	v_dot4c_i32_i8 v81, v130, v132
	v_dot4c_i32_i8 v79, v130, v133
	v_dot4c_i32_i8 v77, v130, v134
	s_waitcnt lgkmcnt(1)
	v_dot4c_i32_i8 v102, v127, v135
	v_dot4c_i32_i8 v105, v127, v136
	v_dot4c_i32_i8 v103, v127, v137
	v_dot4c_i32_i8 v101, v127, v138
	v_dot4c_i32_i8 v96, v128, v135
	v_dot4c_i32_i8 v100, v128, v136
	v_dot4c_i32_i8 v99, v128, v137
	v_dot4c_i32_i8 v95, v128, v138
	v_dot4c_i32_i8 v86, v129, v135
	v_dot4c_i32_i8 v88, v129, v136
	v_dot4c_i32_i8 v87, v129, v137
	v_dot4c_i32_i8 v85, v129, v138
	v_dot4c_i32_i8 v82, v130, v135
	v_dot4c_i32_i8 v84, v130, v136
	v_dot4c_i32_i8 v83, v130, v137
	v_dot4c_i32_i8 v80, v130, v138
	s_waitcnt lgkmcnt(0)
	v_dot4c_i32_i8 v49, v139, v131
	v_dot4c_i32_i8 v52, v139, v132
	v_dot4c_i32_i8 v50, v139, v133
	v_dot4c_i32_i8 v47, v139, v134
	v_dot4c_i32_i8 v59, v140, v131
	v_dot4c_i32_i8 v62, v140, v132
	v_dot4c_i32_i8 v60, v140, v133
	v_dot4c_i32_i8 v57, v140, v134
	v_dot4c_i32_i8 v63, v141, v131
	v_dot4c_i32_i8 v67, v141, v132
	v_dot4c_i32_i8 v65, v141, v133
	v_dot4c_i32_i8 v61, v141, v134
	v_dot4c_i32_i8 v74, v142, v131
	v_dot4c_i32_i8 v76, v142, v132
	v_dot4c_i32_i8 v75, v142, v133
	v_dot4c_i32_i8 v73, v142, v134
	v_dot4c_i32_i8 v48, v139, v135
	v_dot4c_i32_i8 v55, v139, v136
	;; [unrolled: 1-line block ×16, first 2 shown]
	ds_read_b128 v[127:130], v3 offset:4096
	ds_read_b128 v[131:134], v15 offset:20480
	;; [unrolled: 1-line block ×4, first 2 shown]
	s_waitcnt lgkmcnt(2)
	v_dot4c_i32_i8 v107, v127, v131
	v_dot4c_i32_i8 v109, v127, v132
	v_dot4c_i32_i8 v108, v127, v133
	v_dot4c_i32_i8 v104, v127, v134
	v_dot4c_i32_i8 v94, v128, v131
	v_dot4c_i32_i8 v98, v128, v132
	v_dot4c_i32_i8 v97, v128, v133
	v_dot4c_i32_i8 v93, v128, v134
	v_dot4c_i32_i8 v90, v129, v131
	v_dot4c_i32_i8 v92, v129, v132
	v_dot4c_i32_i8 v91, v129, v133
	v_dot4c_i32_i8 v89, v129, v134
	v_dot4c_i32_i8 v78, v130, v131
	v_dot4c_i32_i8 v81, v130, v132
	v_dot4c_i32_i8 v79, v130, v133
	v_dot4c_i32_i8 v77, v130, v134
	s_waitcnt lgkmcnt(1)
	v_dot4c_i32_i8 v102, v127, v135
	v_dot4c_i32_i8 v105, v127, v136
	v_dot4c_i32_i8 v103, v127, v137
	v_dot4c_i32_i8 v101, v127, v138
	v_dot4c_i32_i8 v96, v128, v135
	v_dot4c_i32_i8 v100, v128, v136
	v_dot4c_i32_i8 v99, v128, v137
	v_dot4c_i32_i8 v95, v128, v138
	v_dot4c_i32_i8 v86, v129, v135
	v_dot4c_i32_i8 v88, v129, v136
	v_dot4c_i32_i8 v87, v129, v137
	v_dot4c_i32_i8 v85, v129, v138
	v_dot4c_i32_i8 v82, v130, v135
	v_dot4c_i32_i8 v84, v130, v136
	v_dot4c_i32_i8 v83, v130, v137
	v_dot4c_i32_i8 v80, v130, v138
	;; [unrolled: 17-line block ×3, first 2 shown]
	v_dot4c_i32_i8 v48, v139, v135
	v_dot4c_i32_i8 v55, v139, v136
	;; [unrolled: 1-line block ×16, first 2 shown]
	ds_read_b128 v[127:130], v3 offset:4608
	ds_read_b128 v[131:134], v15 offset:20992
	;; [unrolled: 1-line block ×4, first 2 shown]
	s_waitcnt lgkmcnt(2)
	v_dot4c_i32_i8 v107, v127, v131
	v_dot4c_i32_i8 v109, v127, v132
	v_dot4c_i32_i8 v108, v127, v133
	v_dot4c_i32_i8 v104, v127, v134
	v_dot4c_i32_i8 v94, v128, v131
	v_dot4c_i32_i8 v98, v128, v132
	v_dot4c_i32_i8 v97, v128, v133
	v_dot4c_i32_i8 v93, v128, v134
	v_dot4c_i32_i8 v90, v129, v131
	v_dot4c_i32_i8 v92, v129, v132
	v_dot4c_i32_i8 v91, v129, v133
	v_dot4c_i32_i8 v89, v129, v134
	v_dot4c_i32_i8 v78, v130, v131
	v_dot4c_i32_i8 v81, v130, v132
	v_dot4c_i32_i8 v79, v130, v133
	v_dot4c_i32_i8 v77, v130, v134
	s_waitcnt lgkmcnt(1)
	v_dot4c_i32_i8 v102, v127, v135
	v_dot4c_i32_i8 v105, v127, v136
	v_dot4c_i32_i8 v103, v127, v137
	v_dot4c_i32_i8 v101, v127, v138
	v_dot4c_i32_i8 v96, v128, v135
	v_dot4c_i32_i8 v100, v128, v136
	v_dot4c_i32_i8 v99, v128, v137
	v_dot4c_i32_i8 v95, v128, v138
	v_dot4c_i32_i8 v86, v129, v135
	v_dot4c_i32_i8 v88, v129, v136
	v_dot4c_i32_i8 v87, v129, v137
	v_dot4c_i32_i8 v85, v129, v138
	v_dot4c_i32_i8 v82, v130, v135
	v_dot4c_i32_i8 v84, v130, v136
	v_dot4c_i32_i8 v83, v130, v137
	v_dot4c_i32_i8 v80, v130, v138
	;; [unrolled: 17-line block ×3, first 2 shown]
	v_dot4c_i32_i8 v48, v139, v135
	v_dot4c_i32_i8 v55, v139, v136
	;; [unrolled: 1-line block ×16, first 2 shown]
	ds_read_b128 v[127:130], v3 offset:5120
	ds_read_b128 v[131:134], v15 offset:21504
	ds_read_b128 v[135:138], v15 offset:21760
	ds_read_b128 v[139:142], v3 offset:5376
	s_waitcnt lgkmcnt(2)
	v_dot4c_i32_i8 v107, v127, v131
	v_dot4c_i32_i8 v109, v127, v132
	v_dot4c_i32_i8 v108, v127, v133
	v_dot4c_i32_i8 v104, v127, v134
	v_dot4c_i32_i8 v94, v128, v131
	v_dot4c_i32_i8 v98, v128, v132
	v_dot4c_i32_i8 v97, v128, v133
	v_dot4c_i32_i8 v93, v128, v134
	v_dot4c_i32_i8 v90, v129, v131
	v_dot4c_i32_i8 v92, v129, v132
	v_dot4c_i32_i8 v91, v129, v133
	v_dot4c_i32_i8 v89, v129, v134
	v_dot4c_i32_i8 v78, v130, v131
	v_dot4c_i32_i8 v81, v130, v132
	v_dot4c_i32_i8 v79, v130, v133
	v_dot4c_i32_i8 v77, v130, v134
	s_waitcnt lgkmcnt(1)
	v_dot4c_i32_i8 v102, v127, v135
	v_dot4c_i32_i8 v105, v127, v136
	v_dot4c_i32_i8 v103, v127, v137
	v_dot4c_i32_i8 v101, v127, v138
	v_dot4c_i32_i8 v96, v128, v135
	v_dot4c_i32_i8 v100, v128, v136
	v_dot4c_i32_i8 v99, v128, v137
	v_dot4c_i32_i8 v95, v128, v138
	v_dot4c_i32_i8 v86, v129, v135
	v_dot4c_i32_i8 v88, v129, v136
	v_dot4c_i32_i8 v87, v129, v137
	v_dot4c_i32_i8 v85, v129, v138
	v_dot4c_i32_i8 v82, v130, v135
	v_dot4c_i32_i8 v84, v130, v136
	v_dot4c_i32_i8 v83, v130, v137
	v_dot4c_i32_i8 v80, v130, v138
	;; [unrolled: 17-line block ×3, first 2 shown]
	v_dot4c_i32_i8 v48, v139, v135
	v_dot4c_i32_i8 v55, v139, v136
	v_dot4c_i32_i8 v53, v139, v137
	v_dot4c_i32_i8 v46, v139, v138
	v_dot4c_i32_i8 v54, v140, v135
	v_dot4c_i32_i8 v58, v140, v136
	v_dot4c_i32_i8 v56, v140, v137
	v_dot4c_i32_i8 v51, v140, v138
	v_dot4c_i32_i8 v68, v141, v135
	v_dot4c_i32_i8 v71, v141, v136
	v_dot4c_i32_i8 v69, v141, v137
	v_dot4c_i32_i8 v66, v141, v138
	v_dot4c_i32_i8 v64, v142, v135
	v_dot4c_i32_i8 v72, v142, v136
	v_dot4c_i32_i8 v70, v142, v137
	v_dot4c_i32_i8 v45, v142, v138
	ds_read_b128 v[127:130], v3 offset:5632
	ds_read_b128 v[131:134], v15 offset:22016
	;; [unrolled: 1-line block ×4, first 2 shown]
	s_waitcnt lgkmcnt(2)
	v_dot4c_i32_i8 v107, v127, v131
	v_dot4c_i32_i8 v109, v127, v132
	v_dot4c_i32_i8 v108, v127, v133
	v_dot4c_i32_i8 v104, v127, v134
	v_dot4c_i32_i8 v94, v128, v131
	v_dot4c_i32_i8 v98, v128, v132
	v_dot4c_i32_i8 v97, v128, v133
	v_dot4c_i32_i8 v93, v128, v134
	v_dot4c_i32_i8 v90, v129, v131
	v_dot4c_i32_i8 v92, v129, v132
	v_dot4c_i32_i8 v91, v129, v133
	v_dot4c_i32_i8 v89, v129, v134
	v_dot4c_i32_i8 v78, v130, v131
	v_dot4c_i32_i8 v81, v130, v132
	v_dot4c_i32_i8 v79, v130, v133
	v_dot4c_i32_i8 v77, v130, v134
	s_waitcnt lgkmcnt(1)
	v_dot4c_i32_i8 v102, v127, v135
	v_dot4c_i32_i8 v105, v127, v136
	v_dot4c_i32_i8 v103, v127, v137
	v_dot4c_i32_i8 v101, v127, v138
	v_dot4c_i32_i8 v96, v128, v135
	v_dot4c_i32_i8 v100, v128, v136
	v_dot4c_i32_i8 v99, v128, v137
	v_dot4c_i32_i8 v95, v128, v138
	v_dot4c_i32_i8 v86, v129, v135
	v_dot4c_i32_i8 v88, v129, v136
	v_dot4c_i32_i8 v87, v129, v137
	v_dot4c_i32_i8 v85, v129, v138
	v_dot4c_i32_i8 v82, v130, v135
	v_dot4c_i32_i8 v84, v130, v136
	v_dot4c_i32_i8 v83, v130, v137
	v_dot4c_i32_i8 v80, v130, v138
	;; [unrolled: 17-line block ×3, first 2 shown]
	v_dot4c_i32_i8 v48, v139, v135
	v_dot4c_i32_i8 v55, v139, v136
	;; [unrolled: 1-line block ×16, first 2 shown]
	ds_read_b128 v[127:130], v3 offset:6144
	ds_read_b128 v[131:134], v15 offset:22528
	;; [unrolled: 1-line block ×4, first 2 shown]
	s_waitcnt lgkmcnt(2)
	v_dot4c_i32_i8 v107, v127, v131
	v_dot4c_i32_i8 v109, v127, v132
	v_dot4c_i32_i8 v108, v127, v133
	v_dot4c_i32_i8 v104, v127, v134
	v_dot4c_i32_i8 v94, v128, v131
	v_dot4c_i32_i8 v98, v128, v132
	v_dot4c_i32_i8 v97, v128, v133
	v_dot4c_i32_i8 v93, v128, v134
	v_dot4c_i32_i8 v90, v129, v131
	v_dot4c_i32_i8 v92, v129, v132
	v_dot4c_i32_i8 v91, v129, v133
	v_dot4c_i32_i8 v89, v129, v134
	v_dot4c_i32_i8 v78, v130, v131
	v_dot4c_i32_i8 v81, v130, v132
	v_dot4c_i32_i8 v79, v130, v133
	v_dot4c_i32_i8 v77, v130, v134
	s_waitcnt lgkmcnt(1)
	v_dot4c_i32_i8 v102, v127, v135
	v_dot4c_i32_i8 v105, v127, v136
	v_dot4c_i32_i8 v103, v127, v137
	v_dot4c_i32_i8 v101, v127, v138
	v_dot4c_i32_i8 v96, v128, v135
	v_dot4c_i32_i8 v100, v128, v136
	v_dot4c_i32_i8 v99, v128, v137
	v_dot4c_i32_i8 v95, v128, v138
	v_dot4c_i32_i8 v86, v129, v135
	v_dot4c_i32_i8 v88, v129, v136
	v_dot4c_i32_i8 v87, v129, v137
	v_dot4c_i32_i8 v85, v129, v138
	v_dot4c_i32_i8 v82, v130, v135
	v_dot4c_i32_i8 v84, v130, v136
	v_dot4c_i32_i8 v83, v130, v137
	v_dot4c_i32_i8 v80, v130, v138
	;; [unrolled: 17-line block ×3, first 2 shown]
	v_dot4c_i32_i8 v48, v139, v135
	v_dot4c_i32_i8 v55, v139, v136
	;; [unrolled: 1-line block ×16, first 2 shown]
	ds_read_b128 v[127:130], v3 offset:6656
	ds_read_b128 v[131:134], v15 offset:23040
	;; [unrolled: 1-line block ×4, first 2 shown]
	s_waitcnt lgkmcnt(2)
	v_dot4c_i32_i8 v107, v127, v131
	v_dot4c_i32_i8 v109, v127, v132
	v_dot4c_i32_i8 v108, v127, v133
	v_dot4c_i32_i8 v104, v127, v134
	v_dot4c_i32_i8 v94, v128, v131
	v_dot4c_i32_i8 v98, v128, v132
	v_dot4c_i32_i8 v97, v128, v133
	v_dot4c_i32_i8 v93, v128, v134
	v_dot4c_i32_i8 v90, v129, v131
	v_dot4c_i32_i8 v92, v129, v132
	v_dot4c_i32_i8 v91, v129, v133
	v_dot4c_i32_i8 v89, v129, v134
	v_dot4c_i32_i8 v78, v130, v131
	v_dot4c_i32_i8 v81, v130, v132
	v_dot4c_i32_i8 v79, v130, v133
	v_dot4c_i32_i8 v77, v130, v134
	s_waitcnt lgkmcnt(1)
	v_dot4c_i32_i8 v102, v127, v135
	v_dot4c_i32_i8 v105, v127, v136
	v_dot4c_i32_i8 v103, v127, v137
	v_dot4c_i32_i8 v101, v127, v138
	v_dot4c_i32_i8 v96, v128, v135
	v_dot4c_i32_i8 v100, v128, v136
	v_dot4c_i32_i8 v99, v128, v137
	v_dot4c_i32_i8 v95, v128, v138
	v_dot4c_i32_i8 v86, v129, v135
	v_dot4c_i32_i8 v88, v129, v136
	v_dot4c_i32_i8 v87, v129, v137
	v_dot4c_i32_i8 v85, v129, v138
	v_dot4c_i32_i8 v82, v130, v135
	v_dot4c_i32_i8 v84, v130, v136
	v_dot4c_i32_i8 v83, v130, v137
	v_dot4c_i32_i8 v80, v130, v138
	;; [unrolled: 17-line block ×3, first 2 shown]
	v_dot4c_i32_i8 v48, v139, v135
	v_dot4c_i32_i8 v55, v139, v136
	;; [unrolled: 1-line block ×16, first 2 shown]
	ds_read_b128 v[127:130], v3 offset:7168
	ds_read_b128 v[131:134], v15 offset:23552
	;; [unrolled: 1-line block ×4, first 2 shown]
	s_waitcnt lgkmcnt(2)
	v_dot4c_i32_i8 v107, v127, v131
	v_dot4c_i32_i8 v109, v127, v132
	v_dot4c_i32_i8 v108, v127, v133
	v_dot4c_i32_i8 v104, v127, v134
	v_dot4c_i32_i8 v94, v128, v131
	v_dot4c_i32_i8 v98, v128, v132
	v_dot4c_i32_i8 v97, v128, v133
	v_dot4c_i32_i8 v93, v128, v134
	v_dot4c_i32_i8 v90, v129, v131
	v_dot4c_i32_i8 v92, v129, v132
	v_dot4c_i32_i8 v91, v129, v133
	v_dot4c_i32_i8 v89, v129, v134
	v_dot4c_i32_i8 v78, v130, v131
	v_dot4c_i32_i8 v81, v130, v132
	v_dot4c_i32_i8 v79, v130, v133
	v_dot4c_i32_i8 v77, v130, v134
	s_waitcnt lgkmcnt(1)
	v_dot4c_i32_i8 v102, v127, v135
	v_dot4c_i32_i8 v105, v127, v136
	v_dot4c_i32_i8 v103, v127, v137
	v_dot4c_i32_i8 v101, v127, v138
	v_dot4c_i32_i8 v96, v128, v135
	v_dot4c_i32_i8 v100, v128, v136
	v_dot4c_i32_i8 v99, v128, v137
	v_dot4c_i32_i8 v95, v128, v138
	v_dot4c_i32_i8 v86, v129, v135
	v_dot4c_i32_i8 v88, v129, v136
	v_dot4c_i32_i8 v87, v129, v137
	v_dot4c_i32_i8 v85, v129, v138
	v_dot4c_i32_i8 v82, v130, v135
	v_dot4c_i32_i8 v84, v130, v136
	v_dot4c_i32_i8 v83, v130, v137
	v_dot4c_i32_i8 v80, v130, v138
	;; [unrolled: 17-line block ×3, first 2 shown]
	v_dot4c_i32_i8 v48, v139, v135
	v_dot4c_i32_i8 v55, v139, v136
	;; [unrolled: 1-line block ×16, first 2 shown]
	ds_read_b128 v[127:130], v3 offset:7680
	ds_read_b128 v[131:134], v15 offset:24064
	ds_read_b128 v[135:138], v15 offset:24320
	ds_read_b128 v[139:142], v3 offset:7936
	s_waitcnt lgkmcnt(2)
	v_dot4c_i32_i8 v107, v127, v131
	v_dot4c_i32_i8 v109, v127, v132
	;; [unrolled: 1-line block ×16, first 2 shown]
	s_waitcnt lgkmcnt(1)
	v_dot4c_i32_i8 v102, v127, v135
	v_dot4c_i32_i8 v105, v127, v136
	v_dot4c_i32_i8 v103, v127, v137
	v_dot4c_i32_i8 v101, v127, v138
	v_dot4c_i32_i8 v96, v128, v135
	v_dot4c_i32_i8 v100, v128, v136
	v_dot4c_i32_i8 v99, v128, v137
	v_dot4c_i32_i8 v95, v128, v138
	v_dot4c_i32_i8 v86, v129, v135
	v_dot4c_i32_i8 v88, v129, v136
	v_dot4c_i32_i8 v87, v129, v137
	v_dot4c_i32_i8 v85, v129, v138
	v_dot4c_i32_i8 v82, v130, v135
	v_dot4c_i32_i8 v84, v130, v136
	v_dot4c_i32_i8 v83, v130, v137
	v_dot4c_i32_i8 v80, v130, v138
	s_waitcnt vmcnt(14)
	v_perm_b32 v127, v123, v124, 0xc0c0004
	s_waitcnt vmcnt(12)
	v_perm_b32 v128, v125, v126, 0xc0c0004
	v_perm_b32 v129, v123, v124, 0xc0c0105
	;; [unrolled: 1-line block ×3, first 2 shown]
	s_waitcnt lgkmcnt(0)
	v_dot4c_i32_i8 v49, v139, v131
	v_dot4c_i32_i8 v52, v139, v132
	v_lshl_or_b32 v127, v128, 16, v127
	v_dot4c_i32_i8 v50, v139, v133
	v_lshl_or_b32 v128, v130, 16, v129
	v_perm_b32 v129, v123, v124, 0xc0c0206
	v_perm_b32 v130, v125, v126, 0xc0c0206
	;; [unrolled: 1-line block ×4, first 2 shown]
	s_waitcnt vmcnt(5)
	v_perm_b32 v125, v122, v121, 0xc0c0105
	v_perm_b32 v126, v120, v118, 0xc0c0105
	v_lshl_or_b32 v129, v130, 16, v129
	v_dot4c_i32_i8 v47, v139, v134
	v_lshl_or_b32 v130, v124, 16, v123
	v_perm_b32 v123, v122, v121, 0xc0c0004
	v_perm_b32 v124, v120, v118, 0xc0c0004
	v_dot4c_i32_i8 v59, v140, v131
	v_dot4c_i32_i8 v62, v140, v132
	;; [unrolled: 1-line block ×4, first 2 shown]
	v_lshl_or_b32 v123, v124, 16, v123
	v_lshl_or_b32 v124, v126, 16, v125
	v_perm_b32 v125, v122, v121, 0xc0c0206
	v_perm_b32 v126, v120, v118, 0xc0c0206
	;; [unrolled: 1-line block ×4, first 2 shown]
	s_waitcnt vmcnt(1)
	v_perm_b32 v120, v117, v119, 0xc0c0004
	v_perm_b32 v122, v117, v119, 0xc0c0105
	v_lshl_or_b32 v125, v126, 16, v125
	v_dot4c_i32_i8 v63, v141, v131
	v_lshl_or_b32 v126, v118, 16, v121
	v_perm_b32 v118, v115, v116, 0xc0c0004
	v_perm_b32 v121, v115, v116, 0xc0c0105
	v_dot4c_i32_i8 v67, v141, v132
	v_dot4c_i32_i8 v65, v141, v133
	ds_write_b128 v111, v[123:126] offset:8704
	v_lshl_or_b32 v120, v120, 16, v118
	v_lshl_or_b32 v121, v122, 16, v121
	v_perm_b32 v118, v115, v116, 0xc0c0206
	v_perm_b32 v122, v117, v119, 0xc0c0206
	;; [unrolled: 1-line block ×5, first 2 shown]
	v_dot4c_i32_i8 v61, v141, v134
	v_lshl_or_b32 v122, v122, 16, v118
	s_waitcnt vmcnt(0)
	v_perm_b32 v118, v44, v24, 0xc0c0105
	v_lshl_or_b32 v123, v116, 16, v115
	v_perm_b32 v115, v114, v113, 0xc0c0004
	v_perm_b32 v116, v44, v24, 0xc0c0004
	v_dot4c_i32_i8 v74, v142, v131
	v_dot4c_i32_i8 v76, v142, v132
	ds_write_b128 v111, v[120:123] offset:24576
	v_dot4c_i32_i8 v75, v142, v133
	v_lshl_or_b32 v115, v116, 16, v115
	v_lshl_or_b32 v116, v118, 16, v117
	v_perm_b32 v117, v114, v113, 0xc0c0206
	v_perm_b32 v118, v44, v24, 0xc0c0206
	v_perm_b32 v113, v114, v113, 0xc0c0307
	v_perm_b32 v24, v44, v24, 0xc0c0307
	v_add_nc_u32_e32 v44, v112, v7
	v_add_nc_u32_e32 v114, v112, v5
	v_lshl_or_b32 v117, v118, 16, v117
	v_dot4c_i32_i8 v73, v142, v134
	v_lshl_or_b32 v118, v24, 16, v113
	v_add_nc_u32_e32 v24, v112, v33
	buffer_load_dword v44, v44, s[12:15], 0 offen
	v_add_nc_u32_e32 v113, v112, v6
	buffer_load_dword v114, v114, s[12:15], 0 offen
	ds_write_b128 v111, v[115:118] offset:25088
	buffer_load_dword v123, v24, s[8:11], 0 offen
	v_add_nc_u32_e32 v24, v112, v32
	buffer_load_dword v113, v113, s[12:15], 0 offen
	v_dot4c_i32_i8 v48, v139, v135
	v_dot4c_i32_i8 v55, v139, v136
	v_dot4c_i32_i8 v53, v139, v137
	buffer_load_dword v124, v24, s[8:11], 0 offen
	v_add_nc_u32_e32 v24, v112, v31
	v_dot4c_i32_i8 v46, v139, v138
	v_dot4c_i32_i8 v54, v140, v135
	v_dot4c_i32_i8 v58, v140, v136
	v_dot4c_i32_i8 v56, v140, v137
	buffer_load_dword v125, v24, s[8:11], 0 offen
	v_add_nc_u32_e32 v24, v112, v30
	v_dot4c_i32_i8 v51, v140, v138
	;; [unrolled: 6-line block ×4, first 2 shown]
	ds_write_b128 v111, v[127:130] offset:8192
	v_add_nc_u32_e32 v5, s16, v5
	v_add_nc_u32_e32 v6, s16, v6
	buffer_load_dword v120, v24, s[8:11], 0 offen
	v_add_nc_u32_e32 v24, v112, v27
	v_add_nc_u32_e32 v7, s16, v7
	v_add_nc_u32_e32 v27, s17, v27
	v_add_nc_u32_e32 v28, s17, v28
	v_add_nc_u32_e32 v29, s17, v29
	buffer_load_dword v121, v24, s[8:11], 0 offen
	v_add_nc_u32_e32 v24, v112, v26
	v_add_nc_u32_e32 v26, s17, v26
	v_add_nc_u32_e32 v30, s17, v30
	;; [unrolled: 6-line block ×3, first 2 shown]
	buffer_load_dword v115, v24, s[12:15], 0 offen
	v_add_nc_u32_e32 v24, v112, v11
	v_add_nc_u32_e32 v11, s16, v11
	buffer_load_dword v116, v24, s[12:15], 0 offen
	v_add_nc_u32_e32 v24, v112, v10
	v_add_nc_u32_e32 v10, s16, v10
	;; [unrolled: 3-line block ×4, first 2 shown]
	buffer_load_dword v24, v24, s[12:15], 0 offen
	s_waitcnt lgkmcnt(0)
	s_barrier
	ds_read_b128 v[127:130], v3 offset:8192
	ds_read_b128 v[131:134], v15 offset:24576
	;; [unrolled: 1-line block ×4, first 2 shown]
	s_waitcnt lgkmcnt(2)
	v_dot4c_i32_i8 v107, v127, v131
	v_dot4c_i32_i8 v109, v127, v132
	v_dot4c_i32_i8 v108, v127, v133
	v_dot4c_i32_i8 v104, v127, v134
	v_dot4c_i32_i8 v94, v128, v131
	v_dot4c_i32_i8 v98, v128, v132
	v_dot4c_i32_i8 v97, v128, v133
	v_dot4c_i32_i8 v93, v128, v134
	v_dot4c_i32_i8 v90, v129, v131
	v_dot4c_i32_i8 v92, v129, v132
	v_dot4c_i32_i8 v91, v129, v133
	v_dot4c_i32_i8 v89, v129, v134
	v_dot4c_i32_i8 v78, v130, v131
	v_dot4c_i32_i8 v81, v130, v132
	v_dot4c_i32_i8 v79, v130, v133
	v_dot4c_i32_i8 v77, v130, v134
	s_waitcnt lgkmcnt(1)
	v_dot4c_i32_i8 v102, v127, v135
	v_dot4c_i32_i8 v105, v127, v136
	v_dot4c_i32_i8 v103, v127, v137
	v_dot4c_i32_i8 v101, v127, v138
	v_dot4c_i32_i8 v96, v128, v135
	v_dot4c_i32_i8 v100, v128, v136
	v_dot4c_i32_i8 v99, v128, v137
	v_dot4c_i32_i8 v95, v128, v138
	v_dot4c_i32_i8 v86, v129, v135
	v_dot4c_i32_i8 v88, v129, v136
	v_dot4c_i32_i8 v87, v129, v137
	v_dot4c_i32_i8 v85, v129, v138
	v_dot4c_i32_i8 v82, v130, v135
	v_dot4c_i32_i8 v84, v130, v136
	v_dot4c_i32_i8 v83, v130, v137
	v_dot4c_i32_i8 v80, v130, v138
	;; [unrolled: 17-line block ×3, first 2 shown]
	v_dot4c_i32_i8 v48, v139, v135
	v_dot4c_i32_i8 v55, v139, v136
	;; [unrolled: 1-line block ×16, first 2 shown]
	ds_read_b128 v[127:130], v3 offset:8704
	ds_read_b128 v[131:134], v15 offset:25088
	;; [unrolled: 1-line block ×4, first 2 shown]
	s_waitcnt lgkmcnt(2)
	v_dot4c_i32_i8 v107, v127, v131
	v_dot4c_i32_i8 v109, v127, v132
	v_dot4c_i32_i8 v108, v127, v133
	v_dot4c_i32_i8 v104, v127, v134
	v_dot4c_i32_i8 v94, v128, v131
	v_dot4c_i32_i8 v98, v128, v132
	v_dot4c_i32_i8 v97, v128, v133
	v_dot4c_i32_i8 v93, v128, v134
	v_dot4c_i32_i8 v90, v129, v131
	v_dot4c_i32_i8 v92, v129, v132
	v_dot4c_i32_i8 v91, v129, v133
	v_dot4c_i32_i8 v89, v129, v134
	v_dot4c_i32_i8 v78, v130, v131
	v_dot4c_i32_i8 v81, v130, v132
	v_dot4c_i32_i8 v79, v130, v133
	v_dot4c_i32_i8 v77, v130, v134
	s_waitcnt lgkmcnt(1)
	v_dot4c_i32_i8 v102, v127, v135
	v_dot4c_i32_i8 v105, v127, v136
	v_dot4c_i32_i8 v103, v127, v137
	v_dot4c_i32_i8 v101, v127, v138
	v_dot4c_i32_i8 v96, v128, v135
	v_dot4c_i32_i8 v100, v128, v136
	v_dot4c_i32_i8 v99, v128, v137
	v_dot4c_i32_i8 v95, v128, v138
	v_dot4c_i32_i8 v86, v129, v135
	v_dot4c_i32_i8 v88, v129, v136
	v_dot4c_i32_i8 v87, v129, v137
	v_dot4c_i32_i8 v85, v129, v138
	v_dot4c_i32_i8 v82, v130, v135
	v_dot4c_i32_i8 v84, v130, v136
	v_dot4c_i32_i8 v83, v130, v137
	v_dot4c_i32_i8 v80, v130, v138
	;; [unrolled: 17-line block ×3, first 2 shown]
	v_dot4c_i32_i8 v48, v139, v135
	v_dot4c_i32_i8 v55, v139, v136
	;; [unrolled: 1-line block ×16, first 2 shown]
	ds_read_b128 v[127:130], v3 offset:9216
	ds_read_b128 v[131:134], v15 offset:25600
	;; [unrolled: 1-line block ×4, first 2 shown]
	s_waitcnt lgkmcnt(2)
	v_dot4c_i32_i8 v107, v127, v131
	v_dot4c_i32_i8 v109, v127, v132
	v_dot4c_i32_i8 v108, v127, v133
	v_dot4c_i32_i8 v104, v127, v134
	v_dot4c_i32_i8 v94, v128, v131
	v_dot4c_i32_i8 v98, v128, v132
	v_dot4c_i32_i8 v97, v128, v133
	v_dot4c_i32_i8 v93, v128, v134
	v_dot4c_i32_i8 v90, v129, v131
	v_dot4c_i32_i8 v92, v129, v132
	v_dot4c_i32_i8 v91, v129, v133
	v_dot4c_i32_i8 v89, v129, v134
	v_dot4c_i32_i8 v78, v130, v131
	v_dot4c_i32_i8 v81, v130, v132
	v_dot4c_i32_i8 v79, v130, v133
	v_dot4c_i32_i8 v77, v130, v134
	s_waitcnt lgkmcnt(1)
	v_dot4c_i32_i8 v102, v127, v135
	v_dot4c_i32_i8 v105, v127, v136
	v_dot4c_i32_i8 v103, v127, v137
	v_dot4c_i32_i8 v101, v127, v138
	v_dot4c_i32_i8 v96, v128, v135
	v_dot4c_i32_i8 v100, v128, v136
	v_dot4c_i32_i8 v99, v128, v137
	v_dot4c_i32_i8 v95, v128, v138
	v_dot4c_i32_i8 v86, v129, v135
	v_dot4c_i32_i8 v88, v129, v136
	v_dot4c_i32_i8 v87, v129, v137
	v_dot4c_i32_i8 v85, v129, v138
	v_dot4c_i32_i8 v82, v130, v135
	v_dot4c_i32_i8 v84, v130, v136
	v_dot4c_i32_i8 v83, v130, v137
	v_dot4c_i32_i8 v80, v130, v138
	s_waitcnt lgkmcnt(0)
	v_dot4c_i32_i8 v49, v139, v131
	v_dot4c_i32_i8 v52, v139, v132
	v_dot4c_i32_i8 v50, v139, v133
	v_dot4c_i32_i8 v47, v139, v134
	v_dot4c_i32_i8 v59, v140, v131
	v_dot4c_i32_i8 v62, v140, v132
	v_dot4c_i32_i8 v60, v140, v133
	v_dot4c_i32_i8 v57, v140, v134
	v_dot4c_i32_i8 v63, v141, v131
	v_dot4c_i32_i8 v67, v141, v132
	v_dot4c_i32_i8 v65, v141, v133
	v_dot4c_i32_i8 v61, v141, v134
	v_dot4c_i32_i8 v74, v142, v131
	v_dot4c_i32_i8 v76, v142, v132
	v_dot4c_i32_i8 v75, v142, v133
	v_dot4c_i32_i8 v73, v142, v134
	v_dot4c_i32_i8 v48, v139, v135
	v_dot4c_i32_i8 v55, v139, v136
	;; [unrolled: 1-line block ×16, first 2 shown]
	ds_read_b128 v[127:130], v3 offset:9728
	ds_read_b128 v[131:134], v15 offset:26112
	;; [unrolled: 1-line block ×4, first 2 shown]
	s_waitcnt lgkmcnt(2)
	v_dot4c_i32_i8 v107, v127, v131
	v_dot4c_i32_i8 v109, v127, v132
	v_dot4c_i32_i8 v108, v127, v133
	v_dot4c_i32_i8 v104, v127, v134
	v_dot4c_i32_i8 v94, v128, v131
	v_dot4c_i32_i8 v98, v128, v132
	v_dot4c_i32_i8 v97, v128, v133
	v_dot4c_i32_i8 v93, v128, v134
	v_dot4c_i32_i8 v90, v129, v131
	v_dot4c_i32_i8 v92, v129, v132
	v_dot4c_i32_i8 v91, v129, v133
	v_dot4c_i32_i8 v89, v129, v134
	v_dot4c_i32_i8 v78, v130, v131
	v_dot4c_i32_i8 v81, v130, v132
	v_dot4c_i32_i8 v79, v130, v133
	v_dot4c_i32_i8 v77, v130, v134
	s_waitcnt lgkmcnt(1)
	v_dot4c_i32_i8 v102, v127, v135
	v_dot4c_i32_i8 v105, v127, v136
	v_dot4c_i32_i8 v103, v127, v137
	v_dot4c_i32_i8 v101, v127, v138
	v_dot4c_i32_i8 v96, v128, v135
	v_dot4c_i32_i8 v100, v128, v136
	v_dot4c_i32_i8 v99, v128, v137
	v_dot4c_i32_i8 v95, v128, v138
	v_dot4c_i32_i8 v86, v129, v135
	v_dot4c_i32_i8 v88, v129, v136
	v_dot4c_i32_i8 v87, v129, v137
	v_dot4c_i32_i8 v85, v129, v138
	v_dot4c_i32_i8 v82, v130, v135
	v_dot4c_i32_i8 v84, v130, v136
	v_dot4c_i32_i8 v83, v130, v137
	v_dot4c_i32_i8 v80, v130, v138
	;; [unrolled: 17-line block ×3, first 2 shown]
	v_dot4c_i32_i8 v48, v139, v135
	v_dot4c_i32_i8 v55, v139, v136
	;; [unrolled: 1-line block ×16, first 2 shown]
	ds_read_b128 v[127:130], v3 offset:10240
	ds_read_b128 v[131:134], v15 offset:26624
	;; [unrolled: 1-line block ×4, first 2 shown]
	s_waitcnt lgkmcnt(2)
	v_dot4c_i32_i8 v107, v127, v131
	v_dot4c_i32_i8 v109, v127, v132
	v_dot4c_i32_i8 v108, v127, v133
	v_dot4c_i32_i8 v104, v127, v134
	v_dot4c_i32_i8 v94, v128, v131
	v_dot4c_i32_i8 v98, v128, v132
	v_dot4c_i32_i8 v97, v128, v133
	v_dot4c_i32_i8 v93, v128, v134
	v_dot4c_i32_i8 v90, v129, v131
	v_dot4c_i32_i8 v92, v129, v132
	v_dot4c_i32_i8 v91, v129, v133
	v_dot4c_i32_i8 v89, v129, v134
	v_dot4c_i32_i8 v78, v130, v131
	v_dot4c_i32_i8 v81, v130, v132
	v_dot4c_i32_i8 v79, v130, v133
	v_dot4c_i32_i8 v77, v130, v134
	s_waitcnt lgkmcnt(1)
	v_dot4c_i32_i8 v102, v127, v135
	v_dot4c_i32_i8 v105, v127, v136
	v_dot4c_i32_i8 v103, v127, v137
	v_dot4c_i32_i8 v101, v127, v138
	v_dot4c_i32_i8 v96, v128, v135
	v_dot4c_i32_i8 v100, v128, v136
	v_dot4c_i32_i8 v99, v128, v137
	v_dot4c_i32_i8 v95, v128, v138
	v_dot4c_i32_i8 v86, v129, v135
	v_dot4c_i32_i8 v88, v129, v136
	v_dot4c_i32_i8 v87, v129, v137
	v_dot4c_i32_i8 v85, v129, v138
	v_dot4c_i32_i8 v82, v130, v135
	v_dot4c_i32_i8 v84, v130, v136
	v_dot4c_i32_i8 v83, v130, v137
	v_dot4c_i32_i8 v80, v130, v138
	;; [unrolled: 17-line block ×3, first 2 shown]
	v_dot4c_i32_i8 v48, v139, v135
	v_dot4c_i32_i8 v55, v139, v136
	;; [unrolled: 1-line block ×16, first 2 shown]
	ds_read_b128 v[127:130], v3 offset:10752
	ds_read_b128 v[131:134], v15 offset:27136
	ds_read_b128 v[135:138], v15 offset:27392
	ds_read_b128 v[139:142], v3 offset:11008
	s_waitcnt lgkmcnt(2)
	v_dot4c_i32_i8 v107, v127, v131
	v_dot4c_i32_i8 v109, v127, v132
	v_dot4c_i32_i8 v108, v127, v133
	v_dot4c_i32_i8 v104, v127, v134
	v_dot4c_i32_i8 v94, v128, v131
	v_dot4c_i32_i8 v98, v128, v132
	v_dot4c_i32_i8 v97, v128, v133
	v_dot4c_i32_i8 v93, v128, v134
	v_dot4c_i32_i8 v90, v129, v131
	v_dot4c_i32_i8 v92, v129, v132
	v_dot4c_i32_i8 v91, v129, v133
	v_dot4c_i32_i8 v89, v129, v134
	v_dot4c_i32_i8 v78, v130, v131
	v_dot4c_i32_i8 v81, v130, v132
	v_dot4c_i32_i8 v79, v130, v133
	v_dot4c_i32_i8 v77, v130, v134
	s_waitcnt lgkmcnt(1)
	v_dot4c_i32_i8 v102, v127, v135
	v_dot4c_i32_i8 v105, v127, v136
	v_dot4c_i32_i8 v103, v127, v137
	v_dot4c_i32_i8 v101, v127, v138
	v_dot4c_i32_i8 v96, v128, v135
	v_dot4c_i32_i8 v100, v128, v136
	v_dot4c_i32_i8 v99, v128, v137
	v_dot4c_i32_i8 v95, v128, v138
	v_dot4c_i32_i8 v86, v129, v135
	v_dot4c_i32_i8 v88, v129, v136
	v_dot4c_i32_i8 v87, v129, v137
	v_dot4c_i32_i8 v85, v129, v138
	v_dot4c_i32_i8 v82, v130, v135
	v_dot4c_i32_i8 v84, v130, v136
	v_dot4c_i32_i8 v83, v130, v137
	v_dot4c_i32_i8 v80, v130, v138
	;; [unrolled: 17-line block ×3, first 2 shown]
	v_dot4c_i32_i8 v48, v139, v135
	v_dot4c_i32_i8 v55, v139, v136
	;; [unrolled: 1-line block ×16, first 2 shown]
	ds_read_b128 v[127:130], v3 offset:11264
	ds_read_b128 v[131:134], v15 offset:27648
	;; [unrolled: 1-line block ×4, first 2 shown]
	s_waitcnt lgkmcnt(2)
	v_dot4c_i32_i8 v107, v127, v131
	v_dot4c_i32_i8 v109, v127, v132
	v_dot4c_i32_i8 v108, v127, v133
	v_dot4c_i32_i8 v104, v127, v134
	v_dot4c_i32_i8 v94, v128, v131
	v_dot4c_i32_i8 v98, v128, v132
	v_dot4c_i32_i8 v97, v128, v133
	v_dot4c_i32_i8 v93, v128, v134
	v_dot4c_i32_i8 v90, v129, v131
	v_dot4c_i32_i8 v92, v129, v132
	v_dot4c_i32_i8 v91, v129, v133
	v_dot4c_i32_i8 v89, v129, v134
	v_dot4c_i32_i8 v78, v130, v131
	v_dot4c_i32_i8 v81, v130, v132
	v_dot4c_i32_i8 v79, v130, v133
	v_dot4c_i32_i8 v77, v130, v134
	s_waitcnt lgkmcnt(1)
	v_dot4c_i32_i8 v102, v127, v135
	v_dot4c_i32_i8 v105, v127, v136
	v_dot4c_i32_i8 v103, v127, v137
	v_dot4c_i32_i8 v101, v127, v138
	v_dot4c_i32_i8 v96, v128, v135
	v_dot4c_i32_i8 v100, v128, v136
	v_dot4c_i32_i8 v99, v128, v137
	v_dot4c_i32_i8 v95, v128, v138
	v_dot4c_i32_i8 v86, v129, v135
	v_dot4c_i32_i8 v88, v129, v136
	v_dot4c_i32_i8 v87, v129, v137
	v_dot4c_i32_i8 v85, v129, v138
	v_dot4c_i32_i8 v82, v130, v135
	v_dot4c_i32_i8 v84, v130, v136
	v_dot4c_i32_i8 v83, v130, v137
	v_dot4c_i32_i8 v80, v130, v138
	;; [unrolled: 17-line block ×3, first 2 shown]
	v_dot4c_i32_i8 v48, v139, v135
	v_dot4c_i32_i8 v55, v139, v136
	;; [unrolled: 1-line block ×16, first 2 shown]
	ds_read_b128 v[127:130], v3 offset:11776
	ds_read_b128 v[131:134], v15 offset:28160
	;; [unrolled: 1-line block ×4, first 2 shown]
	s_waitcnt lgkmcnt(2)
	v_dot4c_i32_i8 v107, v127, v131
	v_dot4c_i32_i8 v109, v127, v132
	v_dot4c_i32_i8 v108, v127, v133
	v_dot4c_i32_i8 v104, v127, v134
	v_dot4c_i32_i8 v94, v128, v131
	v_dot4c_i32_i8 v98, v128, v132
	v_dot4c_i32_i8 v97, v128, v133
	v_dot4c_i32_i8 v93, v128, v134
	v_dot4c_i32_i8 v90, v129, v131
	v_dot4c_i32_i8 v92, v129, v132
	v_dot4c_i32_i8 v91, v129, v133
	v_dot4c_i32_i8 v89, v129, v134
	v_dot4c_i32_i8 v78, v130, v131
	v_dot4c_i32_i8 v81, v130, v132
	v_dot4c_i32_i8 v79, v130, v133
	v_dot4c_i32_i8 v77, v130, v134
	s_waitcnt lgkmcnt(1)
	v_dot4c_i32_i8 v102, v127, v135
	v_dot4c_i32_i8 v105, v127, v136
	v_dot4c_i32_i8 v103, v127, v137
	v_dot4c_i32_i8 v101, v127, v138
	v_dot4c_i32_i8 v96, v128, v135
	v_dot4c_i32_i8 v100, v128, v136
	v_dot4c_i32_i8 v99, v128, v137
	v_dot4c_i32_i8 v95, v128, v138
	v_dot4c_i32_i8 v86, v129, v135
	v_dot4c_i32_i8 v88, v129, v136
	v_dot4c_i32_i8 v87, v129, v137
	v_dot4c_i32_i8 v85, v129, v138
	v_dot4c_i32_i8 v82, v130, v135
	v_dot4c_i32_i8 v84, v130, v136
	v_dot4c_i32_i8 v83, v130, v137
	v_dot4c_i32_i8 v80, v130, v138
	;; [unrolled: 17-line block ×3, first 2 shown]
	v_dot4c_i32_i8 v48, v139, v135
	v_dot4c_i32_i8 v55, v139, v136
	;; [unrolled: 1-line block ×16, first 2 shown]
	ds_read_b128 v[127:130], v3 offset:12288
	ds_read_b128 v[131:134], v15 offset:28672
	;; [unrolled: 1-line block ×4, first 2 shown]
	s_waitcnt lgkmcnt(2)
	v_dot4c_i32_i8 v107, v127, v131
	v_dot4c_i32_i8 v109, v127, v132
	v_dot4c_i32_i8 v108, v127, v133
	v_dot4c_i32_i8 v104, v127, v134
	v_dot4c_i32_i8 v94, v128, v131
	v_dot4c_i32_i8 v98, v128, v132
	v_dot4c_i32_i8 v97, v128, v133
	v_dot4c_i32_i8 v93, v128, v134
	v_dot4c_i32_i8 v90, v129, v131
	v_dot4c_i32_i8 v92, v129, v132
	v_dot4c_i32_i8 v91, v129, v133
	v_dot4c_i32_i8 v89, v129, v134
	v_dot4c_i32_i8 v78, v130, v131
	v_dot4c_i32_i8 v81, v130, v132
	v_dot4c_i32_i8 v79, v130, v133
	v_dot4c_i32_i8 v77, v130, v134
	s_waitcnt lgkmcnt(1)
	v_dot4c_i32_i8 v102, v127, v135
	v_dot4c_i32_i8 v105, v127, v136
	v_dot4c_i32_i8 v103, v127, v137
	v_dot4c_i32_i8 v101, v127, v138
	v_dot4c_i32_i8 v96, v128, v135
	v_dot4c_i32_i8 v100, v128, v136
	v_dot4c_i32_i8 v99, v128, v137
	v_dot4c_i32_i8 v95, v128, v138
	v_dot4c_i32_i8 v86, v129, v135
	v_dot4c_i32_i8 v88, v129, v136
	v_dot4c_i32_i8 v87, v129, v137
	v_dot4c_i32_i8 v85, v129, v138
	v_dot4c_i32_i8 v82, v130, v135
	v_dot4c_i32_i8 v84, v130, v136
	v_dot4c_i32_i8 v83, v130, v137
	v_dot4c_i32_i8 v80, v130, v138
	;; [unrolled: 17-line block ×3, first 2 shown]
	v_dot4c_i32_i8 v48, v139, v135
	v_dot4c_i32_i8 v55, v139, v136
	;; [unrolled: 1-line block ×16, first 2 shown]
	ds_read_b128 v[127:130], v3 offset:12800
	ds_read_b128 v[131:134], v15 offset:29184
	ds_read_b128 v[135:138], v15 offset:29440
	ds_read_b128 v[139:142], v3 offset:13056
	s_waitcnt lgkmcnt(2)
	v_dot4c_i32_i8 v107, v127, v131
	v_dot4c_i32_i8 v109, v127, v132
	v_dot4c_i32_i8 v108, v127, v133
	v_dot4c_i32_i8 v104, v127, v134
	v_dot4c_i32_i8 v94, v128, v131
	v_dot4c_i32_i8 v98, v128, v132
	v_dot4c_i32_i8 v97, v128, v133
	v_dot4c_i32_i8 v93, v128, v134
	v_dot4c_i32_i8 v90, v129, v131
	v_dot4c_i32_i8 v92, v129, v132
	v_dot4c_i32_i8 v91, v129, v133
	v_dot4c_i32_i8 v89, v129, v134
	v_dot4c_i32_i8 v78, v130, v131
	v_dot4c_i32_i8 v81, v130, v132
	v_dot4c_i32_i8 v79, v130, v133
	v_dot4c_i32_i8 v77, v130, v134
	s_waitcnt lgkmcnt(1)
	v_dot4c_i32_i8 v102, v127, v135
	v_dot4c_i32_i8 v105, v127, v136
	v_dot4c_i32_i8 v103, v127, v137
	v_dot4c_i32_i8 v101, v127, v138
	v_dot4c_i32_i8 v96, v128, v135
	v_dot4c_i32_i8 v100, v128, v136
	v_dot4c_i32_i8 v99, v128, v137
	v_dot4c_i32_i8 v95, v128, v138
	v_dot4c_i32_i8 v86, v129, v135
	v_dot4c_i32_i8 v88, v129, v136
	v_dot4c_i32_i8 v87, v129, v137
	v_dot4c_i32_i8 v85, v129, v138
	v_dot4c_i32_i8 v82, v130, v135
	v_dot4c_i32_i8 v84, v130, v136
	v_dot4c_i32_i8 v83, v130, v137
	v_dot4c_i32_i8 v80, v130, v138
	s_waitcnt lgkmcnt(0)
	v_dot4c_i32_i8 v49, v139, v131
	v_dot4c_i32_i8 v52, v139, v132
	v_dot4c_i32_i8 v50, v139, v133
	v_dot4c_i32_i8 v47, v139, v134
	v_dot4c_i32_i8 v59, v140, v131
	v_dot4c_i32_i8 v62, v140, v132
	v_dot4c_i32_i8 v60, v140, v133
	v_dot4c_i32_i8 v57, v140, v134
	v_dot4c_i32_i8 v63, v141, v131
	v_dot4c_i32_i8 v67, v141, v132
	v_dot4c_i32_i8 v65, v141, v133
	v_dot4c_i32_i8 v61, v141, v134
	v_dot4c_i32_i8 v74, v142, v131
	v_dot4c_i32_i8 v76, v142, v132
	v_dot4c_i32_i8 v75, v142, v133
	v_dot4c_i32_i8 v73, v142, v134
	v_dot4c_i32_i8 v48, v139, v135
	v_dot4c_i32_i8 v55, v139, v136
	;; [unrolled: 1-line block ×16, first 2 shown]
	ds_read_b128 v[127:130], v3 offset:13312
	ds_read_b128 v[131:134], v15 offset:29696
	;; [unrolled: 1-line block ×4, first 2 shown]
	s_waitcnt lgkmcnt(2)
	v_dot4c_i32_i8 v107, v127, v131
	v_dot4c_i32_i8 v109, v127, v132
	v_dot4c_i32_i8 v108, v127, v133
	v_dot4c_i32_i8 v104, v127, v134
	v_dot4c_i32_i8 v94, v128, v131
	v_dot4c_i32_i8 v98, v128, v132
	v_dot4c_i32_i8 v97, v128, v133
	v_dot4c_i32_i8 v93, v128, v134
	v_dot4c_i32_i8 v90, v129, v131
	v_dot4c_i32_i8 v92, v129, v132
	v_dot4c_i32_i8 v91, v129, v133
	v_dot4c_i32_i8 v89, v129, v134
	v_dot4c_i32_i8 v78, v130, v131
	v_dot4c_i32_i8 v81, v130, v132
	v_dot4c_i32_i8 v79, v130, v133
	v_dot4c_i32_i8 v77, v130, v134
	s_waitcnt lgkmcnt(1)
	v_dot4c_i32_i8 v102, v127, v135
	v_dot4c_i32_i8 v105, v127, v136
	v_dot4c_i32_i8 v103, v127, v137
	v_dot4c_i32_i8 v101, v127, v138
	v_dot4c_i32_i8 v96, v128, v135
	v_dot4c_i32_i8 v100, v128, v136
	v_dot4c_i32_i8 v99, v128, v137
	v_dot4c_i32_i8 v95, v128, v138
	v_dot4c_i32_i8 v86, v129, v135
	v_dot4c_i32_i8 v88, v129, v136
	v_dot4c_i32_i8 v87, v129, v137
	v_dot4c_i32_i8 v85, v129, v138
	v_dot4c_i32_i8 v82, v130, v135
	v_dot4c_i32_i8 v84, v130, v136
	v_dot4c_i32_i8 v83, v130, v137
	v_dot4c_i32_i8 v80, v130, v138
	;; [unrolled: 17-line block ×3, first 2 shown]
	v_dot4c_i32_i8 v48, v139, v135
	v_dot4c_i32_i8 v55, v139, v136
	;; [unrolled: 1-line block ×16, first 2 shown]
	ds_read_b128 v[127:130], v3 offset:13824
	ds_read_b128 v[131:134], v15 offset:30208
	ds_read_b128 v[135:138], v15 offset:30464
	ds_read_b128 v[139:142], v3 offset:14080
	s_waitcnt lgkmcnt(2)
	v_dot4c_i32_i8 v107, v127, v131
	v_dot4c_i32_i8 v109, v127, v132
	v_dot4c_i32_i8 v108, v127, v133
	v_dot4c_i32_i8 v104, v127, v134
	v_dot4c_i32_i8 v94, v128, v131
	v_dot4c_i32_i8 v98, v128, v132
	v_dot4c_i32_i8 v97, v128, v133
	v_dot4c_i32_i8 v93, v128, v134
	v_dot4c_i32_i8 v90, v129, v131
	v_dot4c_i32_i8 v92, v129, v132
	v_dot4c_i32_i8 v91, v129, v133
	v_dot4c_i32_i8 v89, v129, v134
	v_dot4c_i32_i8 v78, v130, v131
	v_dot4c_i32_i8 v81, v130, v132
	v_dot4c_i32_i8 v79, v130, v133
	v_dot4c_i32_i8 v77, v130, v134
	s_waitcnt lgkmcnt(1)
	v_dot4c_i32_i8 v102, v127, v135
	v_dot4c_i32_i8 v105, v127, v136
	v_dot4c_i32_i8 v103, v127, v137
	v_dot4c_i32_i8 v101, v127, v138
	v_dot4c_i32_i8 v96, v128, v135
	v_dot4c_i32_i8 v100, v128, v136
	v_dot4c_i32_i8 v99, v128, v137
	v_dot4c_i32_i8 v95, v128, v138
	v_dot4c_i32_i8 v86, v129, v135
	v_dot4c_i32_i8 v88, v129, v136
	v_dot4c_i32_i8 v87, v129, v137
	v_dot4c_i32_i8 v85, v129, v138
	v_dot4c_i32_i8 v82, v130, v135
	v_dot4c_i32_i8 v84, v130, v136
	v_dot4c_i32_i8 v83, v130, v137
	v_dot4c_i32_i8 v80, v130, v138
	;; [unrolled: 17-line block ×3, first 2 shown]
	v_dot4c_i32_i8 v48, v139, v135
	v_dot4c_i32_i8 v55, v139, v136
	;; [unrolled: 1-line block ×16, first 2 shown]
	ds_read_b128 v[127:130], v3 offset:14336
	ds_read_b128 v[131:134], v15 offset:30720
	;; [unrolled: 1-line block ×4, first 2 shown]
	s_waitcnt lgkmcnt(2)
	v_dot4c_i32_i8 v107, v127, v131
	v_dot4c_i32_i8 v109, v127, v132
	v_dot4c_i32_i8 v108, v127, v133
	v_dot4c_i32_i8 v104, v127, v134
	v_dot4c_i32_i8 v94, v128, v131
	v_dot4c_i32_i8 v98, v128, v132
	v_dot4c_i32_i8 v97, v128, v133
	v_dot4c_i32_i8 v93, v128, v134
	v_dot4c_i32_i8 v90, v129, v131
	v_dot4c_i32_i8 v92, v129, v132
	v_dot4c_i32_i8 v91, v129, v133
	v_dot4c_i32_i8 v89, v129, v134
	v_dot4c_i32_i8 v78, v130, v131
	v_dot4c_i32_i8 v81, v130, v132
	v_dot4c_i32_i8 v79, v130, v133
	v_dot4c_i32_i8 v77, v130, v134
	s_waitcnt lgkmcnt(1)
	v_dot4c_i32_i8 v102, v127, v135
	v_dot4c_i32_i8 v105, v127, v136
	v_dot4c_i32_i8 v103, v127, v137
	v_dot4c_i32_i8 v101, v127, v138
	v_dot4c_i32_i8 v96, v128, v135
	v_dot4c_i32_i8 v100, v128, v136
	v_dot4c_i32_i8 v99, v128, v137
	v_dot4c_i32_i8 v95, v128, v138
	v_dot4c_i32_i8 v86, v129, v135
	v_dot4c_i32_i8 v88, v129, v136
	v_dot4c_i32_i8 v87, v129, v137
	v_dot4c_i32_i8 v85, v129, v138
	v_dot4c_i32_i8 v82, v130, v135
	v_dot4c_i32_i8 v84, v130, v136
	v_dot4c_i32_i8 v83, v130, v137
	v_dot4c_i32_i8 v80, v130, v138
	;; [unrolled: 17-line block ×3, first 2 shown]
	v_dot4c_i32_i8 v48, v139, v135
	v_dot4c_i32_i8 v55, v139, v136
	;; [unrolled: 1-line block ×16, first 2 shown]
	ds_read_b128 v[127:130], v3 offset:14848
	ds_read_b128 v[131:134], v15 offset:31232
	;; [unrolled: 1-line block ×4, first 2 shown]
	s_waitcnt lgkmcnt(2)
	v_dot4c_i32_i8 v107, v127, v131
	v_dot4c_i32_i8 v109, v127, v132
	v_dot4c_i32_i8 v108, v127, v133
	v_dot4c_i32_i8 v104, v127, v134
	v_dot4c_i32_i8 v94, v128, v131
	v_dot4c_i32_i8 v98, v128, v132
	v_dot4c_i32_i8 v97, v128, v133
	v_dot4c_i32_i8 v93, v128, v134
	v_dot4c_i32_i8 v90, v129, v131
	v_dot4c_i32_i8 v92, v129, v132
	v_dot4c_i32_i8 v91, v129, v133
	v_dot4c_i32_i8 v89, v129, v134
	v_dot4c_i32_i8 v78, v130, v131
	v_dot4c_i32_i8 v81, v130, v132
	v_dot4c_i32_i8 v79, v130, v133
	v_dot4c_i32_i8 v77, v130, v134
	s_waitcnt lgkmcnt(1)
	v_dot4c_i32_i8 v102, v127, v135
	v_dot4c_i32_i8 v105, v127, v136
	v_dot4c_i32_i8 v103, v127, v137
	v_dot4c_i32_i8 v101, v127, v138
	v_dot4c_i32_i8 v96, v128, v135
	v_dot4c_i32_i8 v100, v128, v136
	v_dot4c_i32_i8 v99, v128, v137
	v_dot4c_i32_i8 v95, v128, v138
	v_dot4c_i32_i8 v86, v129, v135
	v_dot4c_i32_i8 v88, v129, v136
	v_dot4c_i32_i8 v87, v129, v137
	v_dot4c_i32_i8 v85, v129, v138
	v_dot4c_i32_i8 v82, v130, v135
	v_dot4c_i32_i8 v84, v130, v136
	v_dot4c_i32_i8 v83, v130, v137
	v_dot4c_i32_i8 v80, v130, v138
	;; [unrolled: 17-line block ×3, first 2 shown]
	v_dot4c_i32_i8 v48, v139, v135
	v_dot4c_i32_i8 v55, v139, v136
	;; [unrolled: 1-line block ×16, first 2 shown]
	ds_read_b128 v[127:130], v3 offset:15360
	ds_read_b128 v[131:134], v15 offset:31744
	;; [unrolled: 1-line block ×4, first 2 shown]
	s_waitcnt lgkmcnt(2)
	v_dot4c_i32_i8 v107, v127, v131
	v_dot4c_i32_i8 v109, v127, v132
	v_dot4c_i32_i8 v108, v127, v133
	v_dot4c_i32_i8 v104, v127, v134
	v_dot4c_i32_i8 v94, v128, v131
	v_dot4c_i32_i8 v98, v128, v132
	v_dot4c_i32_i8 v97, v128, v133
	v_dot4c_i32_i8 v93, v128, v134
	v_dot4c_i32_i8 v90, v129, v131
	v_dot4c_i32_i8 v92, v129, v132
	v_dot4c_i32_i8 v91, v129, v133
	v_dot4c_i32_i8 v89, v129, v134
	v_dot4c_i32_i8 v78, v130, v131
	v_dot4c_i32_i8 v81, v130, v132
	v_dot4c_i32_i8 v79, v130, v133
	v_dot4c_i32_i8 v77, v130, v134
	s_waitcnt lgkmcnt(1)
	v_dot4c_i32_i8 v102, v127, v135
	v_dot4c_i32_i8 v105, v127, v136
	v_dot4c_i32_i8 v103, v127, v137
	v_dot4c_i32_i8 v101, v127, v138
	v_dot4c_i32_i8 v96, v128, v135
	v_dot4c_i32_i8 v100, v128, v136
	v_dot4c_i32_i8 v99, v128, v137
	v_dot4c_i32_i8 v95, v128, v138
	v_dot4c_i32_i8 v86, v129, v135
	v_dot4c_i32_i8 v88, v129, v136
	v_dot4c_i32_i8 v87, v129, v137
	v_dot4c_i32_i8 v85, v129, v138
	v_dot4c_i32_i8 v82, v130, v135
	v_dot4c_i32_i8 v84, v130, v136
	v_dot4c_i32_i8 v83, v130, v137
	v_dot4c_i32_i8 v80, v130, v138
	;; [unrolled: 17-line block ×3, first 2 shown]
	v_dot4c_i32_i8 v48, v139, v135
	v_dot4c_i32_i8 v55, v139, v136
	;; [unrolled: 1-line block ×16, first 2 shown]
	ds_read_b128 v[127:130], v3 offset:15872
	ds_read_b128 v[131:134], v15 offset:32256
	;; [unrolled: 1-line block ×4, first 2 shown]
	s_waitcnt lgkmcnt(2)
	v_dot4c_i32_i8 v107, v127, v131
	v_dot4c_i32_i8 v109, v127, v132
	;; [unrolled: 1-line block ×16, first 2 shown]
	s_waitcnt lgkmcnt(1)
	v_dot4c_i32_i8 v102, v127, v135
	v_dot4c_i32_i8 v105, v127, v136
	;; [unrolled: 1-line block ×16, first 2 shown]
	s_waitcnt vmcnt(11)
	v_perm_b32 v127, v123, v124, 0xc0c0004
	s_waitcnt vmcnt(9)
	v_perm_b32 v128, v125, v126, 0xc0c0004
	v_perm_b32 v129, v123, v124, 0xc0c0105
	;; [unrolled: 1-line block ×3, first 2 shown]
	s_waitcnt lgkmcnt(0)
	v_dot4c_i32_i8 v49, v139, v131
	v_dot4c_i32_i8 v52, v139, v132
	v_lshl_or_b32 v127, v128, 16, v127
	v_dot4c_i32_i8 v50, v139, v133
	v_lshl_or_b32 v128, v130, 16, v129
	v_perm_b32 v129, v123, v124, 0xc0c0206
	v_perm_b32 v130, v125, v126, 0xc0c0206
	;; [unrolled: 1-line block ×4, first 2 shown]
	s_waitcnt vmcnt(5)
	v_perm_b32 v125, v122, v121, 0xc0c0105
	v_perm_b32 v126, v120, v119, 0xc0c0105
	v_lshl_or_b32 v129, v130, 16, v129
	v_dot4c_i32_i8 v47, v139, v134
	v_lshl_or_b32 v130, v124, 16, v123
	v_perm_b32 v123, v122, v121, 0xc0c0004
	v_perm_b32 v124, v120, v119, 0xc0c0004
	v_dot4c_i32_i8 v59, v140, v131
	v_dot4c_i32_i8 v62, v140, v132
	;; [unrolled: 1-line block ×4, first 2 shown]
	v_lshl_or_b32 v123, v124, 16, v123
	v_lshl_or_b32 v124, v126, 16, v125
	v_perm_b32 v125, v122, v121, 0xc0c0206
	v_perm_b32 v126, v120, v119, 0xc0c0206
	;; [unrolled: 1-line block ×4, first 2 shown]
	s_waitcnt vmcnt(1)
	v_perm_b32 v120, v117, v118, 0xc0c0004
	v_perm_b32 v122, v117, v118, 0xc0c0105
	v_lshl_or_b32 v125, v126, 16, v125
	v_dot4c_i32_i8 v63, v141, v131
	v_lshl_or_b32 v126, v119, 16, v121
	v_perm_b32 v119, v115, v116, 0xc0c0004
	v_perm_b32 v121, v115, v116, 0xc0c0105
	v_dot4c_i32_i8 v67, v141, v132
	v_dot4c_i32_i8 v65, v141, v133
	v_dot4c_i32_i8 v61, v141, v134
	v_lshl_or_b32 v119, v120, 16, v119
	v_lshl_or_b32 v120, v122, 16, v121
	v_perm_b32 v121, v115, v116, 0xc0c0206
	v_perm_b32 v122, v117, v118, 0xc0c0206
	v_perm_b32 v115, v115, v116, 0xc0c0307
	v_perm_b32 v116, v117, v118, 0xc0c0307
	v_perm_b32 v117, v114, v113, 0xc0c0105
	s_waitcnt vmcnt(0)
	v_perm_b32 v118, v44, v24, 0xc0c0105
	v_lshl_or_b32 v121, v122, 16, v121
	v_dot4c_i32_i8 v74, v142, v131
	v_lshl_or_b32 v122, v116, 16, v115
	v_perm_b32 v115, v114, v113, 0xc0c0004
	v_perm_b32 v116, v44, v24, 0xc0c0004
	v_dot4c_i32_i8 v76, v142, v132
	v_dot4c_i32_i8 v75, v142, v133
	;; [unrolled: 1-line block ×4, first 2 shown]
	v_lshl_or_b32 v115, v116, 16, v115
	v_lshl_or_b32 v116, v118, 16, v117
	v_perm_b32 v117, v114, v113, 0xc0c0206
	v_perm_b32 v118, v44, v24, 0xc0c0206
	;; [unrolled: 1-line block ×4, first 2 shown]
	v_dot4c_i32_i8 v55, v139, v136
	v_dot4c_i32_i8 v53, v139, v137
	;; [unrolled: 1-line block ×15, first 2 shown]
	v_lshl_or_b32 v117, v118, 16, v117
	v_lshl_or_b32 v118, v24, 16, v113
	ds_write_b128 v111, v[127:130]
	ds_write_b128 v111, v[123:126] offset:512
	ds_write_b128 v111, v[119:122] offset:16384
	;; [unrolled: 1-line block ×3, first 2 shown]
	s_cbranch_vccnz .LBB1_1
; %bb.2:
	s_mul_i32 s5, s29, 60
	s_mul_i32 s16, s28, 60
	v_add3_u32 v5, v112, v23, s5
	v_add3_u32 v4, v112, v4, s16
	;; [unrolled: 1-line block ×5, first 2 shown]
	v_add_nc_u32_e32 v6, s4, v5
	v_add_nc_u32_e32 v18, s3, v4
	v_add3_u32 v1, v112, v1, s16
	v_add3_u32 v10, v112, v13, s5
	;; [unrolled: 1-line block ×3, first 2 shown]
	v_subrev_nc_u32_e32 v7, s29, v6
	v_subrev_nc_u32_e32 v19, s28, v18
	s_waitcnt lgkmcnt(0)
	s_barrier
	ds_read_b128 v[20:23], v3
	ds_read_b128 v[24:27], v15 offset:16384
	v_subrev_nc_u32_e32 v11, s29, v7
	v_subrev_nc_u32_e32 v32, s28, v19
	s_and_b32 s1, s1, 0xffff
	s_mov_b32 s3, 0x31014000
	s_lshl_b32 s4, s7, 6
	v_subrev_nc_u32_e32 v12, s29, v11
	v_subrev_nc_u32_e32 v33, s28, v32
	s_clause 0x7
	buffer_load_dword v13, v8, s[8:11], 0 offen
	buffer_load_dword v14, v9, s[8:11], 0 offen
	;; [unrolled: 1-line block ×8, first 2 shown]
	ds_read_b128 v[28:31], v15 offset:16640
	s_clause 0x7
	buffer_load_dword v5, v2, s[12:15], 0 offen
	buffer_load_dword v6, v1, s[12:15], 0 offen
	;; [unrolled: 1-line block ×8, first 2 shown]
	ds_read_b128 v[32:35], v3 offset:256
	s_waitcnt lgkmcnt(2)
	v_dot4c_i32_i8 v107, v20, v24
	v_dot4c_i32_i8 v109, v20, v25
	;; [unrolled: 1-line block ×16, first 2 shown]
	s_waitcnt lgkmcnt(1)
	v_dot4c_i32_i8 v102, v20, v28
	v_dot4c_i32_i8 v105, v20, v29
	;; [unrolled: 1-line block ×16, first 2 shown]
	ds_read_b128 v[18:21], v3 offset:512
	s_waitcnt lgkmcnt(1)
	v_dot4c_i32_i8 v49, v32, v24
	v_dot4c_i32_i8 v52, v32, v25
	;; [unrolled: 1-line block ×15, first 2 shown]
	ds_read_b128 v[22:25], v15 offset:16896
	v_dot4c_i32_i8 v73, v35, v27
	v_dot4c_i32_i8 v48, v32, v28
	v_dot4c_i32_i8 v55, v32, v29
	v_dot4c_i32_i8 v53, v32, v30
	v_dot4c_i32_i8 v46, v32, v31
	v_dot4c_i32_i8 v54, v33, v28
	v_dot4c_i32_i8 v58, v33, v29
	v_dot4c_i32_i8 v56, v33, v30
	v_dot4c_i32_i8 v51, v33, v31
	v_dot4c_i32_i8 v68, v34, v28
	v_dot4c_i32_i8 v71, v34, v29
	v_dot4c_i32_i8 v69, v34, v30
	v_dot4c_i32_i8 v66, v34, v31
	v_dot4c_i32_i8 v64, v35, v28
	v_dot4c_i32_i8 v72, v35, v29
	ds_read_b128 v[26:29], v15 offset:17152
	v_dot4c_i32_i8 v70, v35, v30
	v_dot4c_i32_i8 v45, v35, v31
	ds_read_b128 v[30:33], v3 offset:768
	s_waitcnt lgkmcnt(2)
	v_dot4c_i32_i8 v107, v18, v22
	v_dot4c_i32_i8 v109, v18, v23
	;; [unrolled: 1-line block ×16, first 2 shown]
	s_waitcnt lgkmcnt(1)
	v_dot4c_i32_i8 v102, v18, v26
	v_dot4c_i32_i8 v105, v18, v27
	;; [unrolled: 1-line block ×16, first 2 shown]
	ds_read_b128 v[18:21], v3 offset:1024
	s_waitcnt lgkmcnt(1)
	v_dot4c_i32_i8 v49, v30, v22
	v_dot4c_i32_i8 v52, v30, v23
	;; [unrolled: 1-line block ×15, first 2 shown]
	ds_read_b128 v[34:37], v15 offset:17408
	v_dot4c_i32_i8 v73, v33, v25
	v_dot4c_i32_i8 v48, v30, v26
	;; [unrolled: 1-line block ×15, first 2 shown]
	ds_read_b128 v[22:25], v15 offset:17664
	v_dot4c_i32_i8 v70, v33, v28
	v_dot4c_i32_i8 v45, v33, v29
	ds_read_b128 v[26:29], v3 offset:1280
	s_waitcnt lgkmcnt(2)
	v_dot4c_i32_i8 v107, v18, v34
	v_dot4c_i32_i8 v109, v18, v35
	;; [unrolled: 1-line block ×16, first 2 shown]
	s_waitcnt lgkmcnt(1)
	v_dot4c_i32_i8 v102, v18, v22
	v_dot4c_i32_i8 v105, v18, v23
	v_dot4c_i32_i8 v103, v18, v24
	v_dot4c_i32_i8 v101, v18, v25
	v_dot4c_i32_i8 v96, v19, v22
	v_dot4c_i32_i8 v100, v19, v23
	v_dot4c_i32_i8 v99, v19, v24
	v_dot4c_i32_i8 v95, v19, v25
	v_dot4c_i32_i8 v86, v20, v22
	v_dot4c_i32_i8 v88, v20, v23
	v_dot4c_i32_i8 v87, v20, v24
	v_dot4c_i32_i8 v85, v20, v25
	v_dot4c_i32_i8 v82, v21, v22
	v_dot4c_i32_i8 v84, v21, v23
	v_dot4c_i32_i8 v83, v21, v24
	v_dot4c_i32_i8 v80, v21, v25
	ds_read_b128 v[18:21], v3 offset:1536
	s_waitcnt lgkmcnt(1)
	v_dot4c_i32_i8 v49, v26, v34
	v_dot4c_i32_i8 v52, v26, v35
	;; [unrolled: 1-line block ×15, first 2 shown]
	ds_read_b128 v[30:33], v15 offset:17920
	v_dot4c_i32_i8 v73, v29, v37
	v_dot4c_i32_i8 v48, v26, v22
	;; [unrolled: 1-line block ×15, first 2 shown]
	ds_read_b128 v[34:37], v15 offset:18176
	v_dot4c_i32_i8 v70, v29, v24
	v_dot4c_i32_i8 v45, v29, v25
	ds_read_b128 v[22:25], v3 offset:1792
	s_waitcnt lgkmcnt(2)
	v_dot4c_i32_i8 v107, v18, v30
	v_dot4c_i32_i8 v109, v18, v31
	;; [unrolled: 1-line block ×16, first 2 shown]
	s_waitcnt lgkmcnt(1)
	v_dot4c_i32_i8 v102, v18, v34
	v_dot4c_i32_i8 v105, v18, v35
	;; [unrolled: 1-line block ×16, first 2 shown]
	ds_read_b128 v[18:21], v3 offset:2048
	s_waitcnt lgkmcnt(1)
	v_dot4c_i32_i8 v49, v22, v30
	v_dot4c_i32_i8 v52, v22, v31
	;; [unrolled: 1-line block ×15, first 2 shown]
	ds_read_b128 v[26:29], v15 offset:18432
	v_dot4c_i32_i8 v73, v25, v33
	v_dot4c_i32_i8 v48, v22, v34
	;; [unrolled: 1-line block ×15, first 2 shown]
	ds_read_b128 v[30:33], v15 offset:18688
	v_dot4c_i32_i8 v70, v25, v36
	v_dot4c_i32_i8 v45, v25, v37
	ds_read_b128 v[22:25], v3 offset:2304
	s_waitcnt lgkmcnt(2)
	v_dot4c_i32_i8 v107, v18, v26
	v_dot4c_i32_i8 v109, v18, v27
	v_dot4c_i32_i8 v108, v18, v28
	v_dot4c_i32_i8 v104, v18, v29
	v_dot4c_i32_i8 v94, v19, v26
	v_dot4c_i32_i8 v98, v19, v27
	v_dot4c_i32_i8 v97, v19, v28
	v_dot4c_i32_i8 v93, v19, v29
	v_dot4c_i32_i8 v90, v20, v26
	v_dot4c_i32_i8 v92, v20, v27
	v_dot4c_i32_i8 v91, v20, v28
	v_dot4c_i32_i8 v89, v20, v29
	v_dot4c_i32_i8 v78, v21, v26
	v_dot4c_i32_i8 v81, v21, v27
	v_dot4c_i32_i8 v79, v21, v28
	v_dot4c_i32_i8 v77, v21, v29
	s_waitcnt lgkmcnt(1)
	v_dot4c_i32_i8 v102, v18, v30
	v_dot4c_i32_i8 v105, v18, v31
	;; [unrolled: 1-line block ×16, first 2 shown]
	ds_read_b128 v[18:21], v3 offset:2560
	s_waitcnt lgkmcnt(1)
	v_dot4c_i32_i8 v49, v22, v26
	v_dot4c_i32_i8 v52, v22, v27
	;; [unrolled: 1-line block ×15, first 2 shown]
	ds_read_b128 v[34:37], v15 offset:18944
	v_dot4c_i32_i8 v73, v25, v29
	v_dot4c_i32_i8 v48, v22, v30
	;; [unrolled: 1-line block ×15, first 2 shown]
	ds_read_b128 v[26:29], v15 offset:19200
	v_dot4c_i32_i8 v70, v25, v32
	v_dot4c_i32_i8 v45, v25, v33
	ds_read_b128 v[22:25], v3 offset:2816
	s_waitcnt lgkmcnt(2)
	v_dot4c_i32_i8 v107, v18, v34
	v_dot4c_i32_i8 v109, v18, v35
	;; [unrolled: 1-line block ×16, first 2 shown]
	s_waitcnt lgkmcnt(1)
	v_dot4c_i32_i8 v102, v18, v26
	v_dot4c_i32_i8 v105, v18, v27
	;; [unrolled: 1-line block ×16, first 2 shown]
	ds_read_b128 v[18:21], v3 offset:3072
	s_waitcnt lgkmcnt(1)
	v_dot4c_i32_i8 v49, v22, v34
	v_dot4c_i32_i8 v52, v22, v35
	;; [unrolled: 1-line block ×15, first 2 shown]
	ds_read_b128 v[30:33], v15 offset:19456
	v_dot4c_i32_i8 v73, v25, v37
	v_dot4c_i32_i8 v48, v22, v26
	;; [unrolled: 1-line block ×15, first 2 shown]
	ds_read_b128 v[34:37], v15 offset:19712
	v_dot4c_i32_i8 v70, v25, v28
	v_dot4c_i32_i8 v45, v25, v29
	ds_read_b128 v[22:25], v3 offset:3328
	s_waitcnt lgkmcnt(2)
	v_dot4c_i32_i8 v107, v18, v30
	v_dot4c_i32_i8 v109, v18, v31
	;; [unrolled: 1-line block ×16, first 2 shown]
	s_waitcnt lgkmcnt(1)
	v_dot4c_i32_i8 v102, v18, v34
	v_dot4c_i32_i8 v105, v18, v35
	;; [unrolled: 1-line block ×16, first 2 shown]
	ds_read_b128 v[18:21], v3 offset:3584
	s_waitcnt lgkmcnt(1)
	v_dot4c_i32_i8 v49, v22, v30
	v_dot4c_i32_i8 v52, v22, v31
	;; [unrolled: 1-line block ×15, first 2 shown]
	ds_read_b128 v[26:29], v15 offset:19968
	v_dot4c_i32_i8 v73, v25, v33
	v_dot4c_i32_i8 v48, v22, v34
	;; [unrolled: 1-line block ×15, first 2 shown]
	ds_read_b128 v[30:33], v15 offset:20224
	v_dot4c_i32_i8 v70, v25, v36
	v_dot4c_i32_i8 v45, v25, v37
	ds_read_b128 v[22:25], v3 offset:3840
	s_waitcnt lgkmcnt(2)
	v_dot4c_i32_i8 v107, v18, v26
	v_dot4c_i32_i8 v109, v18, v27
	;; [unrolled: 1-line block ×16, first 2 shown]
	s_waitcnt lgkmcnt(1)
	v_dot4c_i32_i8 v102, v18, v30
	v_dot4c_i32_i8 v105, v18, v31
	;; [unrolled: 1-line block ×16, first 2 shown]
	ds_read_b128 v[18:21], v3 offset:4096
	s_waitcnt lgkmcnt(1)
	v_dot4c_i32_i8 v49, v22, v26
	v_dot4c_i32_i8 v52, v22, v27
	v_dot4c_i32_i8 v50, v22, v28
	v_dot4c_i32_i8 v47, v22, v29
	v_dot4c_i32_i8 v59, v23, v26
	v_dot4c_i32_i8 v62, v23, v27
	v_dot4c_i32_i8 v60, v23, v28
	v_dot4c_i32_i8 v57, v23, v29
	v_dot4c_i32_i8 v63, v24, v26
	v_dot4c_i32_i8 v67, v24, v27
	v_dot4c_i32_i8 v65, v24, v28
	v_dot4c_i32_i8 v61, v24, v29
	v_dot4c_i32_i8 v74, v25, v26
	v_dot4c_i32_i8 v76, v25, v27
	v_dot4c_i32_i8 v75, v25, v28
	ds_read_b128 v[34:37], v15 offset:20480
	v_dot4c_i32_i8 v73, v25, v29
	v_dot4c_i32_i8 v48, v22, v30
	;; [unrolled: 1-line block ×15, first 2 shown]
	ds_read_b128 v[26:29], v15 offset:20736
	v_dot4c_i32_i8 v70, v25, v32
	v_dot4c_i32_i8 v45, v25, v33
	ds_read_b128 v[22:25], v3 offset:4352
	s_waitcnt lgkmcnt(2)
	v_dot4c_i32_i8 v107, v18, v34
	v_dot4c_i32_i8 v109, v18, v35
	;; [unrolled: 1-line block ×16, first 2 shown]
	s_waitcnt lgkmcnt(1)
	v_dot4c_i32_i8 v102, v18, v26
	v_dot4c_i32_i8 v105, v18, v27
	;; [unrolled: 1-line block ×16, first 2 shown]
	ds_read_b128 v[18:21], v3 offset:4608
	s_waitcnt lgkmcnt(1)
	v_dot4c_i32_i8 v49, v22, v34
	v_dot4c_i32_i8 v52, v22, v35
	;; [unrolled: 1-line block ×15, first 2 shown]
	ds_read_b128 v[30:33], v15 offset:20992
	v_dot4c_i32_i8 v73, v25, v37
	v_dot4c_i32_i8 v48, v22, v26
	;; [unrolled: 1-line block ×15, first 2 shown]
	ds_read_b128 v[34:37], v15 offset:21248
	v_dot4c_i32_i8 v70, v25, v28
	v_dot4c_i32_i8 v45, v25, v29
	ds_read_b128 v[22:25], v3 offset:4864
	s_waitcnt lgkmcnt(2)
	v_dot4c_i32_i8 v107, v18, v30
	v_dot4c_i32_i8 v109, v18, v31
	;; [unrolled: 1-line block ×16, first 2 shown]
	s_waitcnt lgkmcnt(1)
	v_dot4c_i32_i8 v102, v18, v34
	v_dot4c_i32_i8 v105, v18, v35
	;; [unrolled: 1-line block ×16, first 2 shown]
	ds_read_b128 v[18:21], v3 offset:5120
	s_waitcnt lgkmcnt(1)
	v_dot4c_i32_i8 v49, v22, v30
	v_dot4c_i32_i8 v52, v22, v31
	;; [unrolled: 1-line block ×15, first 2 shown]
	ds_read_b128 v[26:29], v15 offset:21504
	v_dot4c_i32_i8 v73, v25, v33
	v_dot4c_i32_i8 v48, v22, v34
	;; [unrolled: 1-line block ×15, first 2 shown]
	ds_read_b128 v[30:33], v15 offset:21760
	v_dot4c_i32_i8 v70, v25, v36
	v_dot4c_i32_i8 v45, v25, v37
	ds_read_b128 v[22:25], v3 offset:5376
	s_waitcnt lgkmcnt(2)
	v_dot4c_i32_i8 v107, v18, v26
	v_dot4c_i32_i8 v109, v18, v27
	;; [unrolled: 1-line block ×16, first 2 shown]
	s_waitcnt lgkmcnt(1)
	v_dot4c_i32_i8 v102, v18, v30
	v_dot4c_i32_i8 v105, v18, v31
	;; [unrolled: 1-line block ×16, first 2 shown]
	ds_read_b128 v[18:21], v3 offset:5632
	s_waitcnt lgkmcnt(1)
	v_dot4c_i32_i8 v49, v22, v26
	v_dot4c_i32_i8 v52, v22, v27
	v_dot4c_i32_i8 v50, v22, v28
	v_dot4c_i32_i8 v47, v22, v29
	v_dot4c_i32_i8 v59, v23, v26
	v_dot4c_i32_i8 v62, v23, v27
	v_dot4c_i32_i8 v60, v23, v28
	v_dot4c_i32_i8 v57, v23, v29
	v_dot4c_i32_i8 v63, v24, v26
	v_dot4c_i32_i8 v67, v24, v27
	v_dot4c_i32_i8 v65, v24, v28
	v_dot4c_i32_i8 v61, v24, v29
	v_dot4c_i32_i8 v74, v25, v26
	v_dot4c_i32_i8 v76, v25, v27
	v_dot4c_i32_i8 v75, v25, v28
	ds_read_b128 v[34:37], v15 offset:22016
	v_dot4c_i32_i8 v73, v25, v29
	v_dot4c_i32_i8 v48, v22, v30
	;; [unrolled: 1-line block ×15, first 2 shown]
	ds_read_b128 v[26:29], v15 offset:22272
	v_dot4c_i32_i8 v70, v25, v32
	v_dot4c_i32_i8 v45, v25, v33
	ds_read_b128 v[22:25], v3 offset:5888
	s_waitcnt lgkmcnt(2)
	v_dot4c_i32_i8 v107, v18, v34
	v_dot4c_i32_i8 v109, v18, v35
	;; [unrolled: 1-line block ×16, first 2 shown]
	s_waitcnt lgkmcnt(1)
	v_dot4c_i32_i8 v102, v18, v26
	v_dot4c_i32_i8 v105, v18, v27
	;; [unrolled: 1-line block ×16, first 2 shown]
	ds_read_b128 v[18:21], v3 offset:6144
	s_waitcnt lgkmcnt(1)
	v_dot4c_i32_i8 v49, v22, v34
	v_dot4c_i32_i8 v52, v22, v35
	;; [unrolled: 1-line block ×15, first 2 shown]
	ds_read_b128 v[30:33], v15 offset:22528
	v_dot4c_i32_i8 v73, v25, v37
	v_dot4c_i32_i8 v48, v22, v26
	;; [unrolled: 1-line block ×15, first 2 shown]
	ds_read_b128 v[34:37], v15 offset:22784
	v_dot4c_i32_i8 v70, v25, v28
	v_dot4c_i32_i8 v45, v25, v29
	ds_read_b128 v[22:25], v3 offset:6400
	s_waitcnt lgkmcnt(2)
	v_dot4c_i32_i8 v107, v18, v30
	v_dot4c_i32_i8 v109, v18, v31
	;; [unrolled: 1-line block ×16, first 2 shown]
	s_waitcnt lgkmcnt(1)
	v_dot4c_i32_i8 v102, v18, v34
	v_dot4c_i32_i8 v105, v18, v35
	;; [unrolled: 1-line block ×16, first 2 shown]
	ds_read_b128 v[18:21], v3 offset:6656
	s_waitcnt lgkmcnt(1)
	v_dot4c_i32_i8 v49, v22, v30
	v_dot4c_i32_i8 v52, v22, v31
	;; [unrolled: 1-line block ×15, first 2 shown]
	ds_read_b128 v[26:29], v15 offset:23040
	v_dot4c_i32_i8 v73, v25, v33
	v_dot4c_i32_i8 v48, v22, v34
	;; [unrolled: 1-line block ×15, first 2 shown]
	ds_read_b128 v[30:33], v15 offset:23296
	v_dot4c_i32_i8 v70, v25, v36
	v_dot4c_i32_i8 v45, v25, v37
	ds_read_b128 v[22:25], v3 offset:6912
	s_waitcnt lgkmcnt(2)
	v_dot4c_i32_i8 v107, v18, v26
	v_dot4c_i32_i8 v109, v18, v27
	;; [unrolled: 1-line block ×16, first 2 shown]
	s_waitcnt lgkmcnt(1)
	v_dot4c_i32_i8 v102, v18, v30
	v_dot4c_i32_i8 v105, v18, v31
	v_dot4c_i32_i8 v103, v18, v32
	v_dot4c_i32_i8 v101, v18, v33
	v_dot4c_i32_i8 v96, v19, v30
	v_dot4c_i32_i8 v100, v19, v31
	v_dot4c_i32_i8 v99, v19, v32
	v_dot4c_i32_i8 v95, v19, v33
	v_dot4c_i32_i8 v86, v20, v30
	v_dot4c_i32_i8 v88, v20, v31
	v_dot4c_i32_i8 v87, v20, v32
	v_dot4c_i32_i8 v85, v20, v33
	v_dot4c_i32_i8 v82, v21, v30
	v_dot4c_i32_i8 v84, v21, v31
	v_dot4c_i32_i8 v83, v21, v32
	v_dot4c_i32_i8 v80, v21, v33
	ds_read_b128 v[18:21], v3 offset:7168
	s_waitcnt lgkmcnt(1)
	v_dot4c_i32_i8 v49, v22, v26
	v_dot4c_i32_i8 v52, v22, v27
	;; [unrolled: 1-line block ×15, first 2 shown]
	ds_read_b128 v[34:37], v15 offset:23552
	v_dot4c_i32_i8 v73, v25, v29
	v_dot4c_i32_i8 v48, v22, v30
	;; [unrolled: 1-line block ×15, first 2 shown]
	ds_read_b128 v[26:29], v15 offset:23808
	v_dot4c_i32_i8 v70, v25, v32
	v_dot4c_i32_i8 v45, v25, v33
	ds_read_b128 v[22:25], v3 offset:7424
	s_waitcnt lgkmcnt(2)
	v_dot4c_i32_i8 v107, v18, v34
	v_dot4c_i32_i8 v109, v18, v35
	;; [unrolled: 1-line block ×16, first 2 shown]
	s_waitcnt lgkmcnt(1)
	v_dot4c_i32_i8 v102, v18, v26
	v_dot4c_i32_i8 v105, v18, v27
	;; [unrolled: 1-line block ×16, first 2 shown]
	ds_read_b128 v[18:21], v3 offset:7680
	s_waitcnt lgkmcnt(1)
	v_dot4c_i32_i8 v49, v22, v34
	v_dot4c_i32_i8 v52, v22, v35
	;; [unrolled: 1-line block ×15, first 2 shown]
	ds_read_b128 v[30:33], v15 offset:24064
	v_dot4c_i32_i8 v73, v25, v37
	ds_read_b128 v[34:37], v15 offset:24320
	v_dot4c_i32_i8 v48, v22, v26
	v_dot4c_i32_i8 v55, v22, v27
	;; [unrolled: 1-line block ×16, first 2 shown]
	ds_read_b128 v[22:25], v3 offset:7936
	s_waitcnt lgkmcnt(2)
	v_dot4c_i32_i8 v107, v18, v30
	v_dot4c_i32_i8 v109, v18, v31
	;; [unrolled: 1-line block ×8, first 2 shown]
	s_waitcnt lgkmcnt(1)
	v_dot4c_i32_i8 v102, v18, v34
	v_dot4c_i32_i8 v105, v18, v35
	;; [unrolled: 1-line block ×8, first 2 shown]
	s_waitcnt vmcnt(14)
	v_perm_b32 v18, v13, v14, 0xc0c0004
	s_waitcnt vmcnt(12)
	v_perm_b32 v19, v16, v17, 0xc0c0004
	v_dot4c_i32_i8 v90, v20, v30
	v_dot4c_i32_i8 v92, v20, v31
	;; [unrolled: 1-line block ×16, first 2 shown]
	v_lshl_or_b32 v18, v19, 16, v18
	v_perm_b32 v19, v13, v14, 0xc0c0105
	v_perm_b32 v20, v16, v17, 0xc0c0105
	;; [unrolled: 1-line block ×6, first 2 shown]
	s_waitcnt vmcnt(8)
	v_perm_b32 v16, v12, v11, 0xc0c0004
	v_perm_b32 v17, v10, v9, 0xc0c0004
	;; [unrolled: 1-line block ×4, first 2 shown]
	v_lshl_or_b32 v19, v20, 16, v19
	v_lshl_or_b32 v20, v26, 16, v21
	;; [unrolled: 1-line block ×4, first 2 shown]
	v_perm_b32 v13, v12, v11, 0xc0c0206
	v_perm_b32 v14, v10, v9, 0xc0c0206
	;; [unrolled: 1-line block ×4, first 2 shown]
	s_waitcnt vmcnt(6)
	v_perm_b32 v10, v5, v6, 0xc0c0004
	s_waitcnt vmcnt(4)
	v_perm_b32 v12, v7, v8, 0xc0c0004
	v_perm_b32 v16, v5, v6, 0xc0c0105
	;; [unrolled: 1-line block ×3, first 2 shown]
	s_waitcnt lgkmcnt(0)
	v_dot4c_i32_i8 v49, v22, v30
	v_dot4c_i32_i8 v52, v22, v31
	;; [unrolled: 1-line block ×8, first 2 shown]
	v_perm_b32 v30, v5, v6, 0xc0c0206
	v_perm_b32 v31, v7, v8, 0xc0c0206
	v_perm_b32 v5, v5, v6, 0xc0c0307
	v_perm_b32 v6, v7, v8, 0xc0c0307
	v_lshl_or_b32 v27, v28, 16, v27
	v_lshl_or_b32 v28, v14, 16, v13
	;; [unrolled: 1-line block ×5, first 2 shown]
	s_waitcnt vmcnt(0)
	v_perm_b32 v7, v4, v2, 0xc0c0004
	v_perm_b32 v8, v1, v0, 0xc0c0004
	;; [unrolled: 1-line block ×8, first 2 shown]
	v_lshl_or_b32 v11, v31, 16, v30
	v_lshl_or_b32 v12, v6, 16, v5
	v_lshl_or_b32 v4, v8, 16, v7
	v_lshl_or_b32 v5, v14, 16, v13
	v_lshl_or_b32 v6, v17, 16, v16
	v_lshl_or_b32 v7, v0, 16, v2
	v_dot4c_i32_i8 v50, v22, v32
	v_dot4c_i32_i8 v47, v22, v33
	;; [unrolled: 1-line block ×4, first 2 shown]
	ds_write_b128 v111, v[18:21] offset:8192
	ds_write_b128 v111, v[26:29] offset:8704
	;; [unrolled: 1-line block ×4, first 2 shown]
	s_waitcnt lgkmcnt(0)
	s_barrier
	ds_read_b128 v[4:7], v3 offset:8192
	ds_read_b128 v[8:11], v15 offset:24576
	v_dot4c_i32_i8 v48, v22, v34
	v_dot4c_i32_i8 v55, v22, v35
	;; [unrolled: 1-line block ×8, first 2 shown]
	ds_read_b128 v[16:19], v15 offset:24832
	ds_read_b128 v[20:23], v3 offset:8448
	v_dot4c_i32_i8 v65, v24, v32
	v_dot4c_i32_i8 v61, v24, v33
	;; [unrolled: 1-line block ×12, first 2 shown]
	s_waitcnt lgkmcnt(2)
	v_dot4c_i32_i8 v107, v4, v8
	v_dot4c_i32_i8 v109, v4, v9
	;; [unrolled: 1-line block ×16, first 2 shown]
	ds_read_b128 v[24:27], v15 offset:25088
	s_waitcnt lgkmcnt(2)
	v_dot4c_i32_i8 v102, v4, v16
	v_dot4c_i32_i8 v105, v4, v17
	;; [unrolled: 1-line block ×16, first 2 shown]
	ds_read_b128 v[4:7], v3 offset:8704
	s_waitcnt lgkmcnt(2)
	v_dot4c_i32_i8 v49, v20, v8
	v_dot4c_i32_i8 v52, v20, v9
	;; [unrolled: 1-line block ×30, first 2 shown]
	ds_read_b128 v[8:11], v15 offset:25344
	v_dot4c_i32_i8 v70, v23, v18
	v_dot4c_i32_i8 v45, v23, v19
	ds_read_b128 v[16:19], v3 offset:8960
	s_waitcnt lgkmcnt(2)
	v_dot4c_i32_i8 v107, v4, v24
	v_dot4c_i32_i8 v109, v4, v25
	v_dot4c_i32_i8 v108, v4, v26
	v_dot4c_i32_i8 v104, v4, v27
	v_dot4c_i32_i8 v94, v5, v24
	v_dot4c_i32_i8 v98, v5, v25
	v_dot4c_i32_i8 v97, v5, v26
	v_dot4c_i32_i8 v93, v5, v27
	v_dot4c_i32_i8 v90, v6, v24
	v_dot4c_i32_i8 v92, v6, v25
	v_dot4c_i32_i8 v91, v6, v26
	v_dot4c_i32_i8 v89, v6, v27
	v_dot4c_i32_i8 v78, v7, v24
	v_dot4c_i32_i8 v81, v7, v25
	v_dot4c_i32_i8 v79, v7, v26
	v_dot4c_i32_i8 v77, v7, v27
	ds_read_b128 v[20:23], v15 offset:25600
	s_waitcnt lgkmcnt(2)
	v_dot4c_i32_i8 v102, v4, v8
	v_dot4c_i32_i8 v105, v4, v9
	v_dot4c_i32_i8 v103, v4, v10
	v_dot4c_i32_i8 v101, v4, v11
	v_dot4c_i32_i8 v96, v5, v8
	v_dot4c_i32_i8 v100, v5, v9
	v_dot4c_i32_i8 v99, v5, v10
	v_dot4c_i32_i8 v95, v5, v11
	v_dot4c_i32_i8 v86, v6, v8
	v_dot4c_i32_i8 v88, v6, v9
	v_dot4c_i32_i8 v87, v6, v10
	v_dot4c_i32_i8 v85, v6, v11
	v_dot4c_i32_i8 v82, v7, v8
	v_dot4c_i32_i8 v84, v7, v9
	;; [unrolled: 18-line block ×3, first 2 shown]
	v_dot4c_i32_i8 v75, v19, v26
	v_dot4c_i32_i8 v73, v19, v27
	;; [unrolled: 1-line block ×16, first 2 shown]
	ds_read_b128 v[24:27], v15 offset:25856
	v_dot4c_i32_i8 v70, v19, v10
	v_dot4c_i32_i8 v45, v19, v11
	ds_read_b128 v[8:11], v3 offset:9472
	s_waitcnt lgkmcnt(2)
	v_dot4c_i32_i8 v107, v4, v20
	v_dot4c_i32_i8 v109, v4, v21
	v_dot4c_i32_i8 v108, v4, v22
	v_dot4c_i32_i8 v104, v4, v23
	v_dot4c_i32_i8 v94, v5, v20
	v_dot4c_i32_i8 v98, v5, v21
	v_dot4c_i32_i8 v97, v5, v22
	v_dot4c_i32_i8 v93, v5, v23
	v_dot4c_i32_i8 v90, v6, v20
	v_dot4c_i32_i8 v92, v6, v21
	v_dot4c_i32_i8 v91, v6, v22
	v_dot4c_i32_i8 v89, v6, v23
	v_dot4c_i32_i8 v78, v7, v20
	v_dot4c_i32_i8 v81, v7, v21
	v_dot4c_i32_i8 v79, v7, v22
	v_dot4c_i32_i8 v77, v7, v23
	ds_read_b128 v[16:19], v15 offset:26112
	s_waitcnt lgkmcnt(2)
	v_dot4c_i32_i8 v102, v4, v24
	v_dot4c_i32_i8 v105, v4, v25
	v_dot4c_i32_i8 v103, v4, v26
	v_dot4c_i32_i8 v101, v4, v27
	v_dot4c_i32_i8 v96, v5, v24
	v_dot4c_i32_i8 v100, v5, v25
	v_dot4c_i32_i8 v99, v5, v26
	v_dot4c_i32_i8 v95, v5, v27
	v_dot4c_i32_i8 v86, v6, v24
	v_dot4c_i32_i8 v88, v6, v25
	v_dot4c_i32_i8 v87, v6, v26
	v_dot4c_i32_i8 v85, v6, v27
	v_dot4c_i32_i8 v82, v7, v24
	v_dot4c_i32_i8 v84, v7, v25
	;; [unrolled: 18-line block ×3, first 2 shown]
	v_dot4c_i32_i8 v75, v11, v22
	v_dot4c_i32_i8 v73, v11, v23
	;; [unrolled: 1-line block ×16, first 2 shown]
	ds_read_b128 v[20:23], v15 offset:26368
	v_dot4c_i32_i8 v70, v11, v26
	v_dot4c_i32_i8 v45, v11, v27
	ds_read_b128 v[8:11], v3 offset:9984
	s_waitcnt lgkmcnt(2)
	v_dot4c_i32_i8 v107, v4, v16
	v_dot4c_i32_i8 v109, v4, v17
	v_dot4c_i32_i8 v108, v4, v18
	v_dot4c_i32_i8 v104, v4, v19
	v_dot4c_i32_i8 v94, v5, v16
	v_dot4c_i32_i8 v98, v5, v17
	v_dot4c_i32_i8 v97, v5, v18
	v_dot4c_i32_i8 v93, v5, v19
	v_dot4c_i32_i8 v90, v6, v16
	v_dot4c_i32_i8 v92, v6, v17
	v_dot4c_i32_i8 v91, v6, v18
	v_dot4c_i32_i8 v89, v6, v19
	v_dot4c_i32_i8 v78, v7, v16
	v_dot4c_i32_i8 v81, v7, v17
	v_dot4c_i32_i8 v79, v7, v18
	v_dot4c_i32_i8 v77, v7, v19
	ds_read_b128 v[24:27], v15 offset:26624
	s_waitcnt lgkmcnt(2)
	v_dot4c_i32_i8 v102, v4, v20
	v_dot4c_i32_i8 v105, v4, v21
	v_dot4c_i32_i8 v103, v4, v22
	v_dot4c_i32_i8 v101, v4, v23
	v_dot4c_i32_i8 v96, v5, v20
	v_dot4c_i32_i8 v100, v5, v21
	v_dot4c_i32_i8 v99, v5, v22
	v_dot4c_i32_i8 v95, v5, v23
	v_dot4c_i32_i8 v86, v6, v20
	v_dot4c_i32_i8 v88, v6, v21
	v_dot4c_i32_i8 v87, v6, v22
	v_dot4c_i32_i8 v85, v6, v23
	v_dot4c_i32_i8 v82, v7, v20
	v_dot4c_i32_i8 v84, v7, v21
	;; [unrolled: 18-line block ×3, first 2 shown]
	v_dot4c_i32_i8 v75, v11, v18
	v_dot4c_i32_i8 v73, v11, v19
	;; [unrolled: 1-line block ×16, first 2 shown]
	ds_read_b128 v[16:19], v15 offset:26880
	v_dot4c_i32_i8 v70, v11, v22
	v_dot4c_i32_i8 v45, v11, v23
	ds_read_b128 v[8:11], v3 offset:10496
	s_waitcnt lgkmcnt(2)
	v_dot4c_i32_i8 v107, v4, v24
	v_dot4c_i32_i8 v109, v4, v25
	v_dot4c_i32_i8 v108, v4, v26
	v_dot4c_i32_i8 v104, v4, v27
	v_dot4c_i32_i8 v94, v5, v24
	v_dot4c_i32_i8 v98, v5, v25
	v_dot4c_i32_i8 v97, v5, v26
	v_dot4c_i32_i8 v93, v5, v27
	v_dot4c_i32_i8 v90, v6, v24
	v_dot4c_i32_i8 v92, v6, v25
	v_dot4c_i32_i8 v91, v6, v26
	v_dot4c_i32_i8 v89, v6, v27
	v_dot4c_i32_i8 v78, v7, v24
	v_dot4c_i32_i8 v81, v7, v25
	v_dot4c_i32_i8 v79, v7, v26
	v_dot4c_i32_i8 v77, v7, v27
	ds_read_b128 v[20:23], v15 offset:27136
	s_waitcnt lgkmcnt(2)
	v_dot4c_i32_i8 v102, v4, v16
	v_dot4c_i32_i8 v105, v4, v17
	v_dot4c_i32_i8 v103, v4, v18
	v_dot4c_i32_i8 v101, v4, v19
	v_dot4c_i32_i8 v96, v5, v16
	v_dot4c_i32_i8 v100, v5, v17
	v_dot4c_i32_i8 v99, v5, v18
	v_dot4c_i32_i8 v95, v5, v19
	v_dot4c_i32_i8 v86, v6, v16
	v_dot4c_i32_i8 v88, v6, v17
	v_dot4c_i32_i8 v87, v6, v18
	v_dot4c_i32_i8 v85, v6, v19
	v_dot4c_i32_i8 v82, v7, v16
	v_dot4c_i32_i8 v84, v7, v17
	v_dot4c_i32_i8 v83, v7, v18
	v_dot4c_i32_i8 v80, v7, v19
	ds_read_b128 v[4:7], v3 offset:10752
	s_waitcnt lgkmcnt(2)
	v_dot4c_i32_i8 v49, v8, v24
	v_dot4c_i32_i8 v52, v8, v25
	v_dot4c_i32_i8 v50, v8, v26
	v_dot4c_i32_i8 v47, v8, v27
	v_dot4c_i32_i8 v59, v9, v24
	v_dot4c_i32_i8 v62, v9, v25
	v_dot4c_i32_i8 v60, v9, v26
	v_dot4c_i32_i8 v57, v9, v27
	v_dot4c_i32_i8 v63, v10, v24
	v_dot4c_i32_i8 v67, v10, v25
	v_dot4c_i32_i8 v65, v10, v26
	v_dot4c_i32_i8 v61, v10, v27
	v_dot4c_i32_i8 v74, v11, v24
	v_dot4c_i32_i8 v76, v11, v25
	v_dot4c_i32_i8 v75, v11, v26
	v_dot4c_i32_i8 v73, v11, v27
	;; [unrolled: 1-line block ×16, first 2 shown]
	ds_read_b128 v[24:27], v15 offset:27392
	v_dot4c_i32_i8 v70, v11, v18
	v_dot4c_i32_i8 v45, v11, v19
	ds_read_b128 v[8:11], v3 offset:11008
	s_waitcnt lgkmcnt(2)
	v_dot4c_i32_i8 v107, v4, v20
	v_dot4c_i32_i8 v109, v4, v21
	v_dot4c_i32_i8 v108, v4, v22
	v_dot4c_i32_i8 v104, v4, v23
	v_dot4c_i32_i8 v94, v5, v20
	v_dot4c_i32_i8 v98, v5, v21
	v_dot4c_i32_i8 v97, v5, v22
	v_dot4c_i32_i8 v93, v5, v23
	v_dot4c_i32_i8 v90, v6, v20
	v_dot4c_i32_i8 v92, v6, v21
	v_dot4c_i32_i8 v91, v6, v22
	v_dot4c_i32_i8 v89, v6, v23
	v_dot4c_i32_i8 v78, v7, v20
	v_dot4c_i32_i8 v81, v7, v21
	v_dot4c_i32_i8 v79, v7, v22
	v_dot4c_i32_i8 v77, v7, v23
	ds_read_b128 v[16:19], v15 offset:27648
	s_waitcnt lgkmcnt(2)
	v_dot4c_i32_i8 v102, v4, v24
	v_dot4c_i32_i8 v105, v4, v25
	v_dot4c_i32_i8 v103, v4, v26
	v_dot4c_i32_i8 v101, v4, v27
	v_dot4c_i32_i8 v96, v5, v24
	v_dot4c_i32_i8 v100, v5, v25
	v_dot4c_i32_i8 v99, v5, v26
	v_dot4c_i32_i8 v95, v5, v27
	v_dot4c_i32_i8 v86, v6, v24
	v_dot4c_i32_i8 v88, v6, v25
	v_dot4c_i32_i8 v87, v6, v26
	v_dot4c_i32_i8 v85, v6, v27
	v_dot4c_i32_i8 v82, v7, v24
	v_dot4c_i32_i8 v84, v7, v25
	;; [unrolled: 18-line block ×3, first 2 shown]
	v_dot4c_i32_i8 v75, v11, v22
	v_dot4c_i32_i8 v73, v11, v23
	;; [unrolled: 1-line block ×16, first 2 shown]
	ds_read_b128 v[20:23], v15 offset:27904
	v_dot4c_i32_i8 v70, v11, v26
	v_dot4c_i32_i8 v45, v11, v27
	ds_read_b128 v[8:11], v3 offset:11520
	s_waitcnt lgkmcnt(2)
	v_dot4c_i32_i8 v107, v4, v16
	v_dot4c_i32_i8 v109, v4, v17
	v_dot4c_i32_i8 v108, v4, v18
	v_dot4c_i32_i8 v104, v4, v19
	v_dot4c_i32_i8 v94, v5, v16
	v_dot4c_i32_i8 v98, v5, v17
	v_dot4c_i32_i8 v97, v5, v18
	v_dot4c_i32_i8 v93, v5, v19
	v_dot4c_i32_i8 v90, v6, v16
	v_dot4c_i32_i8 v92, v6, v17
	v_dot4c_i32_i8 v91, v6, v18
	v_dot4c_i32_i8 v89, v6, v19
	v_dot4c_i32_i8 v78, v7, v16
	v_dot4c_i32_i8 v81, v7, v17
	v_dot4c_i32_i8 v79, v7, v18
	v_dot4c_i32_i8 v77, v7, v19
	ds_read_b128 v[24:27], v15 offset:28160
	s_waitcnt lgkmcnt(2)
	v_dot4c_i32_i8 v102, v4, v20
	v_dot4c_i32_i8 v105, v4, v21
	v_dot4c_i32_i8 v103, v4, v22
	v_dot4c_i32_i8 v101, v4, v23
	v_dot4c_i32_i8 v96, v5, v20
	v_dot4c_i32_i8 v100, v5, v21
	v_dot4c_i32_i8 v99, v5, v22
	v_dot4c_i32_i8 v95, v5, v23
	v_dot4c_i32_i8 v86, v6, v20
	v_dot4c_i32_i8 v88, v6, v21
	v_dot4c_i32_i8 v87, v6, v22
	v_dot4c_i32_i8 v85, v6, v23
	v_dot4c_i32_i8 v82, v7, v20
	v_dot4c_i32_i8 v84, v7, v21
	;; [unrolled: 18-line block ×3, first 2 shown]
	v_dot4c_i32_i8 v75, v11, v18
	v_dot4c_i32_i8 v73, v11, v19
	;; [unrolled: 1-line block ×16, first 2 shown]
	ds_read_b128 v[16:19], v15 offset:28416
	v_dot4c_i32_i8 v70, v11, v22
	v_dot4c_i32_i8 v45, v11, v23
	ds_read_b128 v[8:11], v3 offset:12032
	s_waitcnt lgkmcnt(2)
	v_dot4c_i32_i8 v107, v4, v24
	v_dot4c_i32_i8 v109, v4, v25
	v_dot4c_i32_i8 v108, v4, v26
	v_dot4c_i32_i8 v104, v4, v27
	v_dot4c_i32_i8 v94, v5, v24
	v_dot4c_i32_i8 v98, v5, v25
	v_dot4c_i32_i8 v97, v5, v26
	v_dot4c_i32_i8 v93, v5, v27
	v_dot4c_i32_i8 v90, v6, v24
	v_dot4c_i32_i8 v92, v6, v25
	v_dot4c_i32_i8 v91, v6, v26
	v_dot4c_i32_i8 v89, v6, v27
	v_dot4c_i32_i8 v78, v7, v24
	v_dot4c_i32_i8 v81, v7, v25
	v_dot4c_i32_i8 v79, v7, v26
	v_dot4c_i32_i8 v77, v7, v27
	ds_read_b128 v[20:23], v15 offset:28672
	s_waitcnt lgkmcnt(2)
	v_dot4c_i32_i8 v102, v4, v16
	v_dot4c_i32_i8 v105, v4, v17
	v_dot4c_i32_i8 v103, v4, v18
	v_dot4c_i32_i8 v101, v4, v19
	v_dot4c_i32_i8 v96, v5, v16
	v_dot4c_i32_i8 v100, v5, v17
	v_dot4c_i32_i8 v99, v5, v18
	v_dot4c_i32_i8 v95, v5, v19
	v_dot4c_i32_i8 v86, v6, v16
	v_dot4c_i32_i8 v88, v6, v17
	v_dot4c_i32_i8 v87, v6, v18
	v_dot4c_i32_i8 v85, v6, v19
	v_dot4c_i32_i8 v82, v7, v16
	v_dot4c_i32_i8 v84, v7, v17
	v_dot4c_i32_i8 v83, v7, v18
	v_dot4c_i32_i8 v80, v7, v19
	ds_read_b128 v[4:7], v3 offset:12288
	s_waitcnt lgkmcnt(2)
	v_dot4c_i32_i8 v49, v8, v24
	v_dot4c_i32_i8 v52, v8, v25
	v_dot4c_i32_i8 v50, v8, v26
	v_dot4c_i32_i8 v47, v8, v27
	v_dot4c_i32_i8 v59, v9, v24
	v_dot4c_i32_i8 v62, v9, v25
	v_dot4c_i32_i8 v60, v9, v26
	v_dot4c_i32_i8 v57, v9, v27
	v_dot4c_i32_i8 v63, v10, v24
	v_dot4c_i32_i8 v67, v10, v25
	v_dot4c_i32_i8 v65, v10, v26
	v_dot4c_i32_i8 v61, v10, v27
	v_dot4c_i32_i8 v74, v11, v24
	v_dot4c_i32_i8 v76, v11, v25
	v_dot4c_i32_i8 v75, v11, v26
	v_dot4c_i32_i8 v73, v11, v27
	;; [unrolled: 1-line block ×16, first 2 shown]
	ds_read_b128 v[24:27], v15 offset:28928
	v_dot4c_i32_i8 v70, v11, v18
	v_dot4c_i32_i8 v45, v11, v19
	ds_read_b128 v[8:11], v3 offset:12544
	s_waitcnt lgkmcnt(2)
	v_dot4c_i32_i8 v107, v4, v20
	v_dot4c_i32_i8 v109, v4, v21
	v_dot4c_i32_i8 v108, v4, v22
	v_dot4c_i32_i8 v104, v4, v23
	v_dot4c_i32_i8 v94, v5, v20
	v_dot4c_i32_i8 v98, v5, v21
	v_dot4c_i32_i8 v97, v5, v22
	v_dot4c_i32_i8 v93, v5, v23
	v_dot4c_i32_i8 v90, v6, v20
	v_dot4c_i32_i8 v92, v6, v21
	v_dot4c_i32_i8 v91, v6, v22
	v_dot4c_i32_i8 v89, v6, v23
	v_dot4c_i32_i8 v78, v7, v20
	v_dot4c_i32_i8 v81, v7, v21
	v_dot4c_i32_i8 v79, v7, v22
	v_dot4c_i32_i8 v77, v7, v23
	ds_read_b128 v[16:19], v15 offset:29184
	s_waitcnt lgkmcnt(2)
	v_dot4c_i32_i8 v102, v4, v24
	v_dot4c_i32_i8 v105, v4, v25
	v_dot4c_i32_i8 v103, v4, v26
	v_dot4c_i32_i8 v101, v4, v27
	v_dot4c_i32_i8 v96, v5, v24
	v_dot4c_i32_i8 v100, v5, v25
	v_dot4c_i32_i8 v99, v5, v26
	v_dot4c_i32_i8 v95, v5, v27
	v_dot4c_i32_i8 v86, v6, v24
	v_dot4c_i32_i8 v88, v6, v25
	v_dot4c_i32_i8 v87, v6, v26
	v_dot4c_i32_i8 v85, v6, v27
	v_dot4c_i32_i8 v82, v7, v24
	v_dot4c_i32_i8 v84, v7, v25
	;; [unrolled: 18-line block ×3, first 2 shown]
	v_dot4c_i32_i8 v75, v11, v22
	v_dot4c_i32_i8 v73, v11, v23
	;; [unrolled: 1-line block ×16, first 2 shown]
	ds_read_b128 v[20:23], v15 offset:29440
	v_dot4c_i32_i8 v70, v11, v26
	v_dot4c_i32_i8 v45, v11, v27
	ds_read_b128 v[8:11], v3 offset:13056
	s_waitcnt lgkmcnt(2)
	v_dot4c_i32_i8 v107, v4, v16
	v_dot4c_i32_i8 v109, v4, v17
	v_dot4c_i32_i8 v108, v4, v18
	v_dot4c_i32_i8 v104, v4, v19
	v_dot4c_i32_i8 v94, v5, v16
	v_dot4c_i32_i8 v98, v5, v17
	v_dot4c_i32_i8 v97, v5, v18
	v_dot4c_i32_i8 v93, v5, v19
	v_dot4c_i32_i8 v90, v6, v16
	v_dot4c_i32_i8 v92, v6, v17
	v_dot4c_i32_i8 v91, v6, v18
	v_dot4c_i32_i8 v89, v6, v19
	v_dot4c_i32_i8 v78, v7, v16
	v_dot4c_i32_i8 v81, v7, v17
	v_dot4c_i32_i8 v79, v7, v18
	v_dot4c_i32_i8 v77, v7, v19
	ds_read_b128 v[24:27], v15 offset:29696
	s_waitcnt lgkmcnt(2)
	v_dot4c_i32_i8 v102, v4, v20
	v_dot4c_i32_i8 v105, v4, v21
	v_dot4c_i32_i8 v103, v4, v22
	v_dot4c_i32_i8 v101, v4, v23
	v_dot4c_i32_i8 v96, v5, v20
	v_dot4c_i32_i8 v100, v5, v21
	v_dot4c_i32_i8 v99, v5, v22
	v_dot4c_i32_i8 v95, v5, v23
	v_dot4c_i32_i8 v86, v6, v20
	v_dot4c_i32_i8 v88, v6, v21
	v_dot4c_i32_i8 v87, v6, v22
	v_dot4c_i32_i8 v85, v6, v23
	v_dot4c_i32_i8 v82, v7, v20
	v_dot4c_i32_i8 v84, v7, v21
	;; [unrolled: 18-line block ×3, first 2 shown]
	v_dot4c_i32_i8 v75, v11, v18
	v_dot4c_i32_i8 v73, v11, v19
	;; [unrolled: 1-line block ×16, first 2 shown]
	ds_read_b128 v[16:19], v15 offset:29952
	v_dot4c_i32_i8 v70, v11, v22
	v_dot4c_i32_i8 v45, v11, v23
	ds_read_b128 v[8:11], v3 offset:13568
	s_waitcnt lgkmcnt(2)
	v_dot4c_i32_i8 v107, v4, v24
	v_dot4c_i32_i8 v109, v4, v25
	v_dot4c_i32_i8 v108, v4, v26
	v_dot4c_i32_i8 v104, v4, v27
	v_dot4c_i32_i8 v94, v5, v24
	v_dot4c_i32_i8 v98, v5, v25
	v_dot4c_i32_i8 v97, v5, v26
	v_dot4c_i32_i8 v93, v5, v27
	v_dot4c_i32_i8 v90, v6, v24
	v_dot4c_i32_i8 v92, v6, v25
	v_dot4c_i32_i8 v91, v6, v26
	v_dot4c_i32_i8 v89, v6, v27
	v_dot4c_i32_i8 v78, v7, v24
	v_dot4c_i32_i8 v81, v7, v25
	v_dot4c_i32_i8 v79, v7, v26
	v_dot4c_i32_i8 v77, v7, v27
	ds_read_b128 v[20:23], v15 offset:30208
	s_waitcnt lgkmcnt(2)
	v_dot4c_i32_i8 v102, v4, v16
	v_dot4c_i32_i8 v105, v4, v17
	v_dot4c_i32_i8 v103, v4, v18
	v_dot4c_i32_i8 v101, v4, v19
	v_dot4c_i32_i8 v96, v5, v16
	v_dot4c_i32_i8 v100, v5, v17
	v_dot4c_i32_i8 v99, v5, v18
	v_dot4c_i32_i8 v95, v5, v19
	v_dot4c_i32_i8 v86, v6, v16
	v_dot4c_i32_i8 v88, v6, v17
	v_dot4c_i32_i8 v87, v6, v18
	v_dot4c_i32_i8 v85, v6, v19
	v_dot4c_i32_i8 v82, v7, v16
	v_dot4c_i32_i8 v84, v7, v17
	;; [unrolled: 18-line block ×3, first 2 shown]
	v_dot4c_i32_i8 v75, v11, v26
	v_dot4c_i32_i8 v73, v11, v27
	;; [unrolled: 1-line block ×16, first 2 shown]
	ds_read_b128 v[24:27], v15 offset:30464
	v_dot4c_i32_i8 v70, v11, v18
	v_dot4c_i32_i8 v45, v11, v19
	ds_read_b128 v[8:11], v3 offset:14080
	s_waitcnt lgkmcnt(2)
	v_dot4c_i32_i8 v107, v4, v20
	v_dot4c_i32_i8 v109, v4, v21
	v_dot4c_i32_i8 v108, v4, v22
	v_dot4c_i32_i8 v104, v4, v23
	v_dot4c_i32_i8 v94, v5, v20
	v_dot4c_i32_i8 v98, v5, v21
	v_dot4c_i32_i8 v97, v5, v22
	v_dot4c_i32_i8 v93, v5, v23
	v_dot4c_i32_i8 v90, v6, v20
	v_dot4c_i32_i8 v92, v6, v21
	v_dot4c_i32_i8 v91, v6, v22
	v_dot4c_i32_i8 v89, v6, v23
	v_dot4c_i32_i8 v78, v7, v20
	v_dot4c_i32_i8 v81, v7, v21
	v_dot4c_i32_i8 v79, v7, v22
	v_dot4c_i32_i8 v77, v7, v23
	ds_read_b128 v[16:19], v15 offset:30720
	s_waitcnt lgkmcnt(2)
	v_dot4c_i32_i8 v102, v4, v24
	v_dot4c_i32_i8 v105, v4, v25
	v_dot4c_i32_i8 v103, v4, v26
	v_dot4c_i32_i8 v101, v4, v27
	v_dot4c_i32_i8 v96, v5, v24
	v_dot4c_i32_i8 v100, v5, v25
	v_dot4c_i32_i8 v99, v5, v26
	v_dot4c_i32_i8 v95, v5, v27
	v_dot4c_i32_i8 v86, v6, v24
	v_dot4c_i32_i8 v88, v6, v25
	v_dot4c_i32_i8 v87, v6, v26
	v_dot4c_i32_i8 v85, v6, v27
	v_dot4c_i32_i8 v82, v7, v24
	v_dot4c_i32_i8 v84, v7, v25
	;; [unrolled: 18-line block ×3, first 2 shown]
	v_dot4c_i32_i8 v75, v11, v22
	v_dot4c_i32_i8 v73, v11, v23
	;; [unrolled: 1-line block ×16, first 2 shown]
	ds_read_b128 v[20:23], v15 offset:30976
	v_dot4c_i32_i8 v70, v11, v26
	v_dot4c_i32_i8 v45, v11, v27
	ds_read_b128 v[8:11], v3 offset:14592
	s_waitcnt lgkmcnt(2)
	v_dot4c_i32_i8 v107, v4, v16
	v_dot4c_i32_i8 v109, v4, v17
	v_dot4c_i32_i8 v108, v4, v18
	v_dot4c_i32_i8 v104, v4, v19
	v_dot4c_i32_i8 v94, v5, v16
	v_dot4c_i32_i8 v98, v5, v17
	v_dot4c_i32_i8 v97, v5, v18
	v_dot4c_i32_i8 v93, v5, v19
	v_dot4c_i32_i8 v90, v6, v16
	v_dot4c_i32_i8 v92, v6, v17
	v_dot4c_i32_i8 v91, v6, v18
	v_dot4c_i32_i8 v89, v6, v19
	v_dot4c_i32_i8 v78, v7, v16
	v_dot4c_i32_i8 v81, v7, v17
	v_dot4c_i32_i8 v79, v7, v18
	v_dot4c_i32_i8 v77, v7, v19
	ds_read_b128 v[24:27], v15 offset:31232
	s_waitcnt lgkmcnt(2)
	v_dot4c_i32_i8 v102, v4, v20
	v_dot4c_i32_i8 v105, v4, v21
	v_dot4c_i32_i8 v103, v4, v22
	v_dot4c_i32_i8 v101, v4, v23
	v_dot4c_i32_i8 v96, v5, v20
	v_dot4c_i32_i8 v100, v5, v21
	v_dot4c_i32_i8 v99, v5, v22
	v_dot4c_i32_i8 v95, v5, v23
	v_dot4c_i32_i8 v86, v6, v20
	v_dot4c_i32_i8 v88, v6, v21
	v_dot4c_i32_i8 v87, v6, v22
	v_dot4c_i32_i8 v85, v6, v23
	v_dot4c_i32_i8 v82, v7, v20
	v_dot4c_i32_i8 v84, v7, v21
	;; [unrolled: 18-line block ×3, first 2 shown]
	v_dot4c_i32_i8 v75, v11, v18
	v_dot4c_i32_i8 v73, v11, v19
	;; [unrolled: 1-line block ×16, first 2 shown]
	ds_read_b128 v[16:19], v15 offset:31488
	v_dot4c_i32_i8 v70, v11, v22
	v_dot4c_i32_i8 v45, v11, v23
	ds_read_b128 v[8:11], v3 offset:15104
	s_waitcnt lgkmcnt(2)
	v_dot4c_i32_i8 v107, v4, v24
	v_dot4c_i32_i8 v109, v4, v25
	v_dot4c_i32_i8 v108, v4, v26
	v_dot4c_i32_i8 v104, v4, v27
	v_dot4c_i32_i8 v94, v5, v24
	v_dot4c_i32_i8 v98, v5, v25
	v_dot4c_i32_i8 v97, v5, v26
	v_dot4c_i32_i8 v93, v5, v27
	v_dot4c_i32_i8 v90, v6, v24
	v_dot4c_i32_i8 v92, v6, v25
	v_dot4c_i32_i8 v91, v6, v26
	v_dot4c_i32_i8 v89, v6, v27
	v_dot4c_i32_i8 v78, v7, v24
	v_dot4c_i32_i8 v81, v7, v25
	v_dot4c_i32_i8 v79, v7, v26
	v_dot4c_i32_i8 v77, v7, v27
	ds_read_b128 v[20:23], v15 offset:31744
	s_waitcnt lgkmcnt(2)
	v_dot4c_i32_i8 v102, v4, v16
	v_dot4c_i32_i8 v105, v4, v17
	v_dot4c_i32_i8 v103, v4, v18
	v_dot4c_i32_i8 v101, v4, v19
	v_dot4c_i32_i8 v96, v5, v16
	v_dot4c_i32_i8 v100, v5, v17
	v_dot4c_i32_i8 v99, v5, v18
	v_dot4c_i32_i8 v95, v5, v19
	v_dot4c_i32_i8 v86, v6, v16
	v_dot4c_i32_i8 v88, v6, v17
	v_dot4c_i32_i8 v87, v6, v18
	v_dot4c_i32_i8 v85, v6, v19
	v_dot4c_i32_i8 v82, v7, v16
	v_dot4c_i32_i8 v84, v7, v17
	;; [unrolled: 18-line block ×3, first 2 shown]
	v_dot4c_i32_i8 v75, v11, v26
	v_dot4c_i32_i8 v73, v11, v27
	ds_read_b128 v[24:27], v15 offset:32000
	v_dot4c_i32_i8 v48, v8, v16
	v_dot4c_i32_i8 v55, v8, v17
	;; [unrolled: 1-line block ×16, first 2 shown]
	ds_read_b128 v[8:11], v3 offset:15616
	s_waitcnt lgkmcnt(2)
	v_dot4c_i32_i8 v107, v4, v20
	v_dot4c_i32_i8 v109, v4, v21
	;; [unrolled: 1-line block ×16, first 2 shown]
	s_waitcnt lgkmcnt(1)
	v_dot4c_i32_i8 v102, v4, v24
	v_dot4c_i32_i8 v105, v4, v25
	;; [unrolled: 1-line block ×16, first 2 shown]
	ds_read_b128 v[4:7], v3 offset:15872
	ds_read_b128 v[16:19], v15 offset:32256
	ds_read_b128 v[0:3], v3 offset:16128
	ds_read_b128 v[12:15], v15 offset:32512
	s_waitcnt lgkmcnt(4)
	v_dot4c_i32_i8 v49, v8, v20
	v_dot4c_i32_i8 v52, v8, v21
	;; [unrolled: 1-line block ×24, first 2 shown]
	s_waitcnt lgkmcnt(2)
	v_dot4c_i32_i8 v109, v4, v17
	v_dot4c_i32_i8 v108, v4, v18
	s_waitcnt lgkmcnt(0)
	v_dot4c_i32_i8 v105, v4, v13
	v_dot4c_i32_i8 v103, v4, v14
	;; [unrolled: 1-line block ×10, first 2 shown]
	v_add_nc_u32_e32 v0, s24, v110
	v_dot4c_i32_i8 v107, v4, v16
	v_dot4c_i32_i8 v104, v4, v19
	;; [unrolled: 1-line block ×28, first 2 shown]
	v_lshlrev_b32_e32 v1, 8, v109
	v_lshlrev_b32_e32 v2, 16, v108
	v_lshlrev_b32_e32 v4, 8, v105
	v_lshlrev_b32_e32 v5, 16, v103
	v_mul_lo_u32 v0, v0, s7
	v_dot4c_i32_i8 v74, v11, v20
	v_dot4c_i32_i8 v76, v11, v21
	;; [unrolled: 1-line block ×24, first 2 shown]
	v_and_b32_e32 v1, 0xff00, v1
	v_and_b32_e32 v2, 0xff0000, v2
	v_perm_b32 v6, v104, v107, 0x40c0c00
	v_and_b32_e32 v4, 0xff00, v4
	v_and_b32_e32 v5, 0xff0000, v5
	v_perm_b32 v7, v101, v102, 0x40c0c00
	v_dot4c_i32_i8 v74, v3, v16
	v_dot4c_i32_i8 v76, v3, v17
	;; [unrolled: 1-line block ×8, first 2 shown]
	v_add3_u32 v0, s6, v106, v0
	v_or3_b32 v1, v6, v1, v2
	v_or3_b32 v2, v7, v4, v5
	v_lshlrev_b32_e32 v3, 8, v100
	v_lshlrev_b32_e32 v4, 16, v99
	buffer_store_dword v1, v0, s[0:3], 0 offen
	buffer_store_dword v2, v0, s[0:3], 0 offen offset:64
	v_lshlrev_b32_e32 v6, 8, v92
	v_and_b32_e32 v1, 0xff00, v3
	v_and_b32_e32 v2, 0xff0000, v4
	v_lshlrev_b32_e32 v3, 8, v98
	v_lshlrev_b32_e32 v4, 16, v97
	;; [unrolled: 1-line block ×3, first 2 shown]
	v_add_nc_u32_e32 v0, s7, v0
	v_perm_b32 v5, v95, v96, 0x40c0c00
	v_and_b32_e32 v3, 0xff00, v3
	v_and_b32_e32 v4, 0xff0000, v4
	v_perm_b32 v8, v93, v94, 0x40c0c00
	v_and_b32_e32 v6, 0xff00, v6
	v_and_b32_e32 v7, 0xff0000, v7
	v_perm_b32 v9, v89, v90, 0x40c0c00
	v_add_nc_u32_e32 v10, 64, v0
	v_or3_b32 v1, v5, v1, v2
	v_or3_b32 v2, v8, v3, v4
	v_add_nc_u32_e32 v3, s7, v0
	v_or3_b32 v4, v9, v6, v7
	v_lshlrev_b32_e32 v5, 8, v88
	buffer_store_dword v1, v10, s[0:3], 0 offen
	buffer_store_dword v2, v0, s[0:3], 0 offen
	v_lshlrev_b32_e32 v0, 16, v87
	v_lshlrev_b32_e32 v2, 8, v84
	buffer_store_dword v4, v3, s[0:3], 0 offen
	v_lshlrev_b32_e32 v4, 16, v83
	v_and_b32_e32 v1, 0xff00, v5
	v_and_b32_e32 v0, 0xff0000, v0
	v_perm_b32 v5, v85, v86, 0x40c0c00
	v_add_nc_u32_e32 v6, 64, v3
	v_and_b32_e32 v2, 0xff00, v2
	v_and_b32_e32 v4, 0xff0000, v4
	v_perm_b32 v7, v80, v82, 0x40c0c00
	v_or3_b32 v0, v5, v1, v0
	v_lshlrev_b32_e32 v1, 8, v81
	v_lshlrev_b32_e32 v5, 16, v79
	v_add_nc_u32_e32 v8, s7, v6
	v_or3_b32 v2, v7, v2, v4
	buffer_store_dword v0, v3, s[0:3], 0 offen offset:64
	v_and_b32_e32 v0, 0xff00, v1
	v_and_b32_e32 v1, 0xff0000, v5
	v_perm_b32 v4, v77, v78, 0x40c0c00
	buffer_store_dword v2, v8, s[0:3], 0 offen
	v_lshlrev_b32_e32 v2, 8, v76
	v_lshlrev_b32_e32 v5, 16, v75
	v_add_nc_u32_e32 v3, s7, v3
	v_or3_b32 v0, v4, v0, v1
	v_perm_b32 v4, v73, v74, 0x40c0c00
	v_and_b32_e32 v1, 0xff00, v2
	v_and_b32_e32 v2, 0xff0000, v5
	v_lshlrev_b32_e32 v5, 16, v70
	buffer_store_dword v0, v3, s[0:3], 0 offen
	v_add_nc_u32_e32 v0, s4, v3
	v_lshlrev_b32_e32 v3, 8, v72
	v_or3_b32 v1, v4, v1, v2
	v_lshlrev_b32_e32 v2, 8, v71
	v_lshlrev_b32_e32 v4, 16, v69
	v_and_b32_e32 v5, 0xff0000, v5
	v_and_b32_e32 v3, 0xff00, v3
	v_perm_b32 v7, v45, v64, 0x40c0c00
	v_and_b32_e32 v2, 0xff00, v2
	v_and_b32_e32 v4, 0xff0000, v4
	v_perm_b32 v8, v66, v68, 0x40c0c00
	v_lshlrev_b32_e32 v9, 8, v67
	v_lshlrev_b32_e32 v10, 16, v65
	v_or3_b32 v3, v7, v3, v5
	v_add_nc_u32_e32 v5, s4, v6
	v_or3_b32 v2, v8, v2, v4
	v_and_b32_e32 v4, 0xff00, v9
	v_and_b32_e32 v6, 0xff0000, v10
	v_perm_b32 v7, v61, v63, 0x40c0c00
	buffer_store_dword v1, v0, s[0:3], 0 offen
	buffer_store_dword v3, v0, s[0:3], 0 offen offset:64
	v_subrev_nc_u32_e32 v0, 64, v5
	buffer_store_dword v2, v5, s[0:3], 0 offen
	v_lshlrev_b32_e32 v2, 8, v62
	v_lshlrev_b32_e32 v3, 16, v60
	v_or3_b32 v1, v7, v4, v6
	v_lshlrev_b32_e32 v5, 8, v58
	v_lshlrev_b32_e32 v6, 16, v56
	v_subrev_nc_u32_e32 v4, s7, v0
	v_lshlrev_b32_e32 v9, 8, v55
	v_lshlrev_b32_e32 v10, 16, v53
	;; [unrolled: 1-line block ×4, first 2 shown]
	v_and_b32_e32 v2, 0xff00, v2
	v_and_b32_e32 v3, 0xff0000, v3
	v_perm_b32 v7, v57, v59, 0x40c0c00
	v_and_b32_e32 v5, 0xff00, v5
	v_and_b32_e32 v6, 0xff0000, v6
	v_perm_b32 v8, v51, v54, 0x40c0c00
	v_subrev_nc_u32_e32 v11, s7, v4
	v_and_b32_e32 v9, 0xff00, v9
	v_and_b32_e32 v10, 0xff0000, v10
	v_perm_b32 v14, v46, v48, 0x40c0c00
	v_and_b32_e32 v12, 0xff00, v12
	v_and_b32_e32 v13, 0xff0000, v13
	v_perm_b32 v15, v47, v49, 0x40c0c00
	v_or3_b32 v2, v7, v2, v3
	v_or3_b32 v3, v8, v5, v6
	v_add_nc_u32_e32 v5, 64, v11
	v_or3_b32 v6, v14, v9, v10
	v_or3_b32 v7, v15, v12, v13
	buffer_store_dword v1, v0, s[0:3], 0 offen
	buffer_store_dword v2, v4, s[0:3], 0 offen
	buffer_store_dword v3, v4, s[0:3], 0 offen offset:64
	buffer_store_dword v6, v5, s[0:3], 0 offen
	buffer_store_dword v7, v11, s[0:3], 0 offen
	s_endpgm
	.section	.rodata,"a",@progbits
	.p2align	6, 0x0
	.amdhsa_kernel _ZN2ck19kernel_gemm_dl_v1r3INS_28GridwiseGemmDl_km_kn_mn_v1r3ILi256EaiaLNS_25InMemoryDataOperationEnumE0ENS_16TensorDescriptorINS_5TupleIJNS_5EmbedINS4_IJiiEEENS4_IJNS_17integral_constantIiLi1EEEiEEELb0EEENS_7UnMergeINS4_IJiNS7_IiLi4EEEEEELb0EEENS_11PassThroughIiEEEEENS4_IJNS_8SequenceIJLi0EEEENSI_IJLi2EEEENSI_IJLi1EEEEEEENS4_IJNSI_IJLi1ELi2EEEENSI_IJLi3ELi4EEEENSI_IJLi5EEEEEEENSI_IJLi3ELi5ELi4EEEElEENS3_INS4_IJNS5_IS6_NS4_IJiS8_EEELb0EEESE_SG_EEENS4_IJSJ_SL_SK_EEESQ_SR_lEENS3_INS4_IJSU_SG_SG_EEESW_NS4_IJSN_NSI_IJLi3EEEENSI_IJLi4EEEEEEESO_lEELi128ELi128ELi16ELi4ELi4ELi4ELi1ENSI_IJLi8ELi2EEEES13_NSI_IJLi2ELi1ELi4ELi4EEEENSI_IJLi8ELi1ELi32ELi1EEEENSI_IJLi0ELi3ELi1ELi2EEEES16_NSI_IJLi1ELi1ELi4ELi1EEEES16_NSI_IJLi1ELi1ELi4ELi4EEEES14_S15_S16_S16_S17_S16_S18_NSI_IJLi0ELi1ELi2ELi3ELi4ELi5EEEELi5ELi4EEEaaNS3_INS4_IJSA_SE_SG_SG_NSB_INS4_IJiNS7_IiLi128EEEEEELb0EEENSF_ISC_EEEEENS4_IJSJ_SK_SL_SZ_SP_S10_EEENS4_IJSN_SO_SP_NSI_IJLi6EEEENSI_IJLi7ELi8EEEENSI_IJLi9EEEEEEENSI_IJLi6ELi7ELi8ELi9EEEElEENS3_INS4_IJSU_SE_SG_SG_S1D_S1E_EEENS4_IJSJ_SL_SK_SZ_SP_S10_EEES1K_S1L_lEENS3_INS4_IJSU_SG_SG_NSB_INS4_IJiNS7_IiLi2EEENS7_IiLi64EEEEEELb0EEES1T_EEENS4_IJSJ_SL_SK_SZ_S10_EEENS4_IJSN_SZ_S10_NSI_IJLi5ELi6ELi7EEEENSI_IJLi8ELi9ELi10EEEEEEENSI_IJLi5ELi6ELi7ELi8ELi9ELi10EEEElEENS_31BlockToCTileMap_M00_N00_M01_N01ILi128ELi128ES12_Lb0EEELb1ELb1EEEvPKT0_S25_PT1_T2_T3_T4_T5_
		.amdhsa_group_segment_fixed_size 32768
		.amdhsa_private_segment_fixed_size 0
		.amdhsa_kernarg_size 328
		.amdhsa_user_sgpr_count 6
		.amdhsa_user_sgpr_private_segment_buffer 1
		.amdhsa_user_sgpr_dispatch_ptr 0
		.amdhsa_user_sgpr_queue_ptr 0
		.amdhsa_user_sgpr_kernarg_segment_ptr 1
		.amdhsa_user_sgpr_dispatch_id 0
		.amdhsa_user_sgpr_flat_scratch_init 0
		.amdhsa_user_sgpr_private_segment_size 0
		.amdhsa_wavefront_size32 1
		.amdhsa_uses_dynamic_stack 0
		.amdhsa_system_sgpr_private_segment_wavefront_offset 0
		.amdhsa_system_sgpr_workgroup_id_x 1
		.amdhsa_system_sgpr_workgroup_id_y 0
		.amdhsa_system_sgpr_workgroup_id_z 0
		.amdhsa_system_sgpr_workgroup_info 0
		.amdhsa_system_vgpr_workitem_id 0
		.amdhsa_next_free_vgpr 143
		.amdhsa_next_free_sgpr 30
		.amdhsa_reserve_vcc 1
		.amdhsa_reserve_flat_scratch 0
		.amdhsa_float_round_mode_32 0
		.amdhsa_float_round_mode_16_64 0
		.amdhsa_float_denorm_mode_32 3
		.amdhsa_float_denorm_mode_16_64 3
		.amdhsa_dx10_clamp 1
		.amdhsa_ieee_mode 1
		.amdhsa_fp16_overflow 0
		.amdhsa_workgroup_processor_mode 1
		.amdhsa_memory_ordered 1
		.amdhsa_forward_progress 1
		.amdhsa_shared_vgpr_count 0
		.amdhsa_exception_fp_ieee_invalid_op 0
		.amdhsa_exception_fp_denorm_src 0
		.amdhsa_exception_fp_ieee_div_zero 0
		.amdhsa_exception_fp_ieee_overflow 0
		.amdhsa_exception_fp_ieee_underflow 0
		.amdhsa_exception_fp_ieee_inexact 0
		.amdhsa_exception_int_div_zero 0
	.end_amdhsa_kernel
	.section	.text._ZN2ck19kernel_gemm_dl_v1r3INS_28GridwiseGemmDl_km_kn_mn_v1r3ILi256EaiaLNS_25InMemoryDataOperationEnumE0ENS_16TensorDescriptorINS_5TupleIJNS_5EmbedINS4_IJiiEEENS4_IJNS_17integral_constantIiLi1EEEiEEELb0EEENS_7UnMergeINS4_IJiNS7_IiLi4EEEEEELb0EEENS_11PassThroughIiEEEEENS4_IJNS_8SequenceIJLi0EEEENSI_IJLi2EEEENSI_IJLi1EEEEEEENS4_IJNSI_IJLi1ELi2EEEENSI_IJLi3ELi4EEEENSI_IJLi5EEEEEEENSI_IJLi3ELi5ELi4EEEElEENS3_INS4_IJNS5_IS6_NS4_IJiS8_EEELb0EEESE_SG_EEENS4_IJSJ_SL_SK_EEESQ_SR_lEENS3_INS4_IJSU_SG_SG_EEESW_NS4_IJSN_NSI_IJLi3EEEENSI_IJLi4EEEEEEESO_lEELi128ELi128ELi16ELi4ELi4ELi4ELi1ENSI_IJLi8ELi2EEEES13_NSI_IJLi2ELi1ELi4ELi4EEEENSI_IJLi8ELi1ELi32ELi1EEEENSI_IJLi0ELi3ELi1ELi2EEEES16_NSI_IJLi1ELi1ELi4ELi1EEEES16_NSI_IJLi1ELi1ELi4ELi4EEEES14_S15_S16_S16_S17_S16_S18_NSI_IJLi0ELi1ELi2ELi3ELi4ELi5EEEELi5ELi4EEEaaNS3_INS4_IJSA_SE_SG_SG_NSB_INS4_IJiNS7_IiLi128EEEEEELb0EEENSF_ISC_EEEEENS4_IJSJ_SK_SL_SZ_SP_S10_EEENS4_IJSN_SO_SP_NSI_IJLi6EEEENSI_IJLi7ELi8EEEENSI_IJLi9EEEEEEENSI_IJLi6ELi7ELi8ELi9EEEElEENS3_INS4_IJSU_SE_SG_SG_S1D_S1E_EEENS4_IJSJ_SL_SK_SZ_SP_S10_EEES1K_S1L_lEENS3_INS4_IJSU_SG_SG_NSB_INS4_IJiNS7_IiLi2EEENS7_IiLi64EEEEEELb0EEES1T_EEENS4_IJSJ_SL_SK_SZ_S10_EEENS4_IJSN_SZ_S10_NSI_IJLi5ELi6ELi7EEEENSI_IJLi8ELi9ELi10EEEEEEENSI_IJLi5ELi6ELi7ELi8ELi9ELi10EEEElEENS_31BlockToCTileMap_M00_N00_M01_N01ILi128ELi128ES12_Lb0EEELb1ELb1EEEvPKT0_S25_PT1_T2_T3_T4_T5_,"axG",@progbits,_ZN2ck19kernel_gemm_dl_v1r3INS_28GridwiseGemmDl_km_kn_mn_v1r3ILi256EaiaLNS_25InMemoryDataOperationEnumE0ENS_16TensorDescriptorINS_5TupleIJNS_5EmbedINS4_IJiiEEENS4_IJNS_17integral_constantIiLi1EEEiEEELb0EEENS_7UnMergeINS4_IJiNS7_IiLi4EEEEEELb0EEENS_11PassThroughIiEEEEENS4_IJNS_8SequenceIJLi0EEEENSI_IJLi2EEEENSI_IJLi1EEEEEEENS4_IJNSI_IJLi1ELi2EEEENSI_IJLi3ELi4EEEENSI_IJLi5EEEEEEENSI_IJLi3ELi5ELi4EEEElEENS3_INS4_IJNS5_IS6_NS4_IJiS8_EEELb0EEESE_SG_EEENS4_IJSJ_SL_SK_EEESQ_SR_lEENS3_INS4_IJSU_SG_SG_EEESW_NS4_IJSN_NSI_IJLi3EEEENSI_IJLi4EEEEEEESO_lEELi128ELi128ELi16ELi4ELi4ELi4ELi1ENSI_IJLi8ELi2EEEES13_NSI_IJLi2ELi1ELi4ELi4EEEENSI_IJLi8ELi1ELi32ELi1EEEENSI_IJLi0ELi3ELi1ELi2EEEES16_NSI_IJLi1ELi1ELi4ELi1EEEES16_NSI_IJLi1ELi1ELi4ELi4EEEES14_S15_S16_S16_S17_S16_S18_NSI_IJLi0ELi1ELi2ELi3ELi4ELi5EEEELi5ELi4EEEaaNS3_INS4_IJSA_SE_SG_SG_NSB_INS4_IJiNS7_IiLi128EEEEEELb0EEENSF_ISC_EEEEENS4_IJSJ_SK_SL_SZ_SP_S10_EEENS4_IJSN_SO_SP_NSI_IJLi6EEEENSI_IJLi7ELi8EEEENSI_IJLi9EEEEEEENSI_IJLi6ELi7ELi8ELi9EEEElEENS3_INS4_IJSU_SE_SG_SG_S1D_S1E_EEENS4_IJSJ_SL_SK_SZ_SP_S10_EEES1K_S1L_lEENS3_INS4_IJSU_SG_SG_NSB_INS4_IJiNS7_IiLi2EEENS7_IiLi64EEEEEELb0EEES1T_EEENS4_IJSJ_SL_SK_SZ_S10_EEENS4_IJSN_SZ_S10_NSI_IJLi5ELi6ELi7EEEENSI_IJLi8ELi9ELi10EEEEEEENSI_IJLi5ELi6ELi7ELi8ELi9ELi10EEEElEENS_31BlockToCTileMap_M00_N00_M01_N01ILi128ELi128ES12_Lb0EEELb1ELb1EEEvPKT0_S25_PT1_T2_T3_T4_T5_,comdat
.Lfunc_end1:
	.size	_ZN2ck19kernel_gemm_dl_v1r3INS_28GridwiseGemmDl_km_kn_mn_v1r3ILi256EaiaLNS_25InMemoryDataOperationEnumE0ENS_16TensorDescriptorINS_5TupleIJNS_5EmbedINS4_IJiiEEENS4_IJNS_17integral_constantIiLi1EEEiEEELb0EEENS_7UnMergeINS4_IJiNS7_IiLi4EEEEEELb0EEENS_11PassThroughIiEEEEENS4_IJNS_8SequenceIJLi0EEEENSI_IJLi2EEEENSI_IJLi1EEEEEEENS4_IJNSI_IJLi1ELi2EEEENSI_IJLi3ELi4EEEENSI_IJLi5EEEEEEENSI_IJLi3ELi5ELi4EEEElEENS3_INS4_IJNS5_IS6_NS4_IJiS8_EEELb0EEESE_SG_EEENS4_IJSJ_SL_SK_EEESQ_SR_lEENS3_INS4_IJSU_SG_SG_EEESW_NS4_IJSN_NSI_IJLi3EEEENSI_IJLi4EEEEEEESO_lEELi128ELi128ELi16ELi4ELi4ELi4ELi1ENSI_IJLi8ELi2EEEES13_NSI_IJLi2ELi1ELi4ELi4EEEENSI_IJLi8ELi1ELi32ELi1EEEENSI_IJLi0ELi3ELi1ELi2EEEES16_NSI_IJLi1ELi1ELi4ELi1EEEES16_NSI_IJLi1ELi1ELi4ELi4EEEES14_S15_S16_S16_S17_S16_S18_NSI_IJLi0ELi1ELi2ELi3ELi4ELi5EEEELi5ELi4EEEaaNS3_INS4_IJSA_SE_SG_SG_NSB_INS4_IJiNS7_IiLi128EEEEEELb0EEENSF_ISC_EEEEENS4_IJSJ_SK_SL_SZ_SP_S10_EEENS4_IJSN_SO_SP_NSI_IJLi6EEEENSI_IJLi7ELi8EEEENSI_IJLi9EEEEEEENSI_IJLi6ELi7ELi8ELi9EEEElEENS3_INS4_IJSU_SE_SG_SG_S1D_S1E_EEENS4_IJSJ_SL_SK_SZ_SP_S10_EEES1K_S1L_lEENS3_INS4_IJSU_SG_SG_NSB_INS4_IJiNS7_IiLi2EEENS7_IiLi64EEEEEELb0EEES1T_EEENS4_IJSJ_SL_SK_SZ_S10_EEENS4_IJSN_SZ_S10_NSI_IJLi5ELi6ELi7EEEENSI_IJLi8ELi9ELi10EEEEEEENSI_IJLi5ELi6ELi7ELi8ELi9ELi10EEEElEENS_31BlockToCTileMap_M00_N00_M01_N01ILi128ELi128ES12_Lb0EEELb1ELb1EEEvPKT0_S25_PT1_T2_T3_T4_T5_, .Lfunc_end1-_ZN2ck19kernel_gemm_dl_v1r3INS_28GridwiseGemmDl_km_kn_mn_v1r3ILi256EaiaLNS_25InMemoryDataOperationEnumE0ENS_16TensorDescriptorINS_5TupleIJNS_5EmbedINS4_IJiiEEENS4_IJNS_17integral_constantIiLi1EEEiEEELb0EEENS_7UnMergeINS4_IJiNS7_IiLi4EEEEEELb0EEENS_11PassThroughIiEEEEENS4_IJNS_8SequenceIJLi0EEEENSI_IJLi2EEEENSI_IJLi1EEEEEEENS4_IJNSI_IJLi1ELi2EEEENSI_IJLi3ELi4EEEENSI_IJLi5EEEEEEENSI_IJLi3ELi5ELi4EEEElEENS3_INS4_IJNS5_IS6_NS4_IJiS8_EEELb0EEESE_SG_EEENS4_IJSJ_SL_SK_EEESQ_SR_lEENS3_INS4_IJSU_SG_SG_EEESW_NS4_IJSN_NSI_IJLi3EEEENSI_IJLi4EEEEEEESO_lEELi128ELi128ELi16ELi4ELi4ELi4ELi1ENSI_IJLi8ELi2EEEES13_NSI_IJLi2ELi1ELi4ELi4EEEENSI_IJLi8ELi1ELi32ELi1EEEENSI_IJLi0ELi3ELi1ELi2EEEES16_NSI_IJLi1ELi1ELi4ELi1EEEES16_NSI_IJLi1ELi1ELi4ELi4EEEES14_S15_S16_S16_S17_S16_S18_NSI_IJLi0ELi1ELi2ELi3ELi4ELi5EEEELi5ELi4EEEaaNS3_INS4_IJSA_SE_SG_SG_NSB_INS4_IJiNS7_IiLi128EEEEEELb0EEENSF_ISC_EEEEENS4_IJSJ_SK_SL_SZ_SP_S10_EEENS4_IJSN_SO_SP_NSI_IJLi6EEEENSI_IJLi7ELi8EEEENSI_IJLi9EEEEEEENSI_IJLi6ELi7ELi8ELi9EEEElEENS3_INS4_IJSU_SE_SG_SG_S1D_S1E_EEENS4_IJSJ_SL_SK_SZ_SP_S10_EEES1K_S1L_lEENS3_INS4_IJSU_SG_SG_NSB_INS4_IJiNS7_IiLi2EEENS7_IiLi64EEEEEELb0EEES1T_EEENS4_IJSJ_SL_SK_SZ_S10_EEENS4_IJSN_SZ_S10_NSI_IJLi5ELi6ELi7EEEENSI_IJLi8ELi9ELi10EEEEEEENSI_IJLi5ELi6ELi7ELi8ELi9ELi10EEEElEENS_31BlockToCTileMap_M00_N00_M01_N01ILi128ELi128ES12_Lb0EEELb1ELb1EEEvPKT0_S25_PT1_T2_T3_T4_T5_
                                        ; -- End function
	.set _ZN2ck19kernel_gemm_dl_v1r3INS_28GridwiseGemmDl_km_kn_mn_v1r3ILi256EaiaLNS_25InMemoryDataOperationEnumE0ENS_16TensorDescriptorINS_5TupleIJNS_5EmbedINS4_IJiiEEENS4_IJNS_17integral_constantIiLi1EEEiEEELb0EEENS_7UnMergeINS4_IJiNS7_IiLi4EEEEEELb0EEENS_11PassThroughIiEEEEENS4_IJNS_8SequenceIJLi0EEEENSI_IJLi2EEEENSI_IJLi1EEEEEEENS4_IJNSI_IJLi1ELi2EEEENSI_IJLi3ELi4EEEENSI_IJLi5EEEEEEENSI_IJLi3ELi5ELi4EEEElEENS3_INS4_IJNS5_IS6_NS4_IJiS8_EEELb0EEESE_SG_EEENS4_IJSJ_SL_SK_EEESQ_SR_lEENS3_INS4_IJSU_SG_SG_EEESW_NS4_IJSN_NSI_IJLi3EEEENSI_IJLi4EEEEEEESO_lEELi128ELi128ELi16ELi4ELi4ELi4ELi1ENSI_IJLi8ELi2EEEES13_NSI_IJLi2ELi1ELi4ELi4EEEENSI_IJLi8ELi1ELi32ELi1EEEENSI_IJLi0ELi3ELi1ELi2EEEES16_NSI_IJLi1ELi1ELi4ELi1EEEES16_NSI_IJLi1ELi1ELi4ELi4EEEES14_S15_S16_S16_S17_S16_S18_NSI_IJLi0ELi1ELi2ELi3ELi4ELi5EEEELi5ELi4EEEaaNS3_INS4_IJSA_SE_SG_SG_NSB_INS4_IJiNS7_IiLi128EEEEEELb0EEENSF_ISC_EEEEENS4_IJSJ_SK_SL_SZ_SP_S10_EEENS4_IJSN_SO_SP_NSI_IJLi6EEEENSI_IJLi7ELi8EEEENSI_IJLi9EEEEEEENSI_IJLi6ELi7ELi8ELi9EEEElEENS3_INS4_IJSU_SE_SG_SG_S1D_S1E_EEENS4_IJSJ_SL_SK_SZ_SP_S10_EEES1K_S1L_lEENS3_INS4_IJSU_SG_SG_NSB_INS4_IJiNS7_IiLi2EEENS7_IiLi64EEEEEELb0EEES1T_EEENS4_IJSJ_SL_SK_SZ_S10_EEENS4_IJSN_SZ_S10_NSI_IJLi5ELi6ELi7EEEENSI_IJLi8ELi9ELi10EEEEEEENSI_IJLi5ELi6ELi7ELi8ELi9ELi10EEEElEENS_31BlockToCTileMap_M00_N00_M01_N01ILi128ELi128ES12_Lb0EEELb1ELb1EEEvPKT0_S25_PT1_T2_T3_T4_T5_.num_vgpr, 143
	.set _ZN2ck19kernel_gemm_dl_v1r3INS_28GridwiseGemmDl_km_kn_mn_v1r3ILi256EaiaLNS_25InMemoryDataOperationEnumE0ENS_16TensorDescriptorINS_5TupleIJNS_5EmbedINS4_IJiiEEENS4_IJNS_17integral_constantIiLi1EEEiEEELb0EEENS_7UnMergeINS4_IJiNS7_IiLi4EEEEEELb0EEENS_11PassThroughIiEEEEENS4_IJNS_8SequenceIJLi0EEEENSI_IJLi2EEEENSI_IJLi1EEEEEEENS4_IJNSI_IJLi1ELi2EEEENSI_IJLi3ELi4EEEENSI_IJLi5EEEEEEENSI_IJLi3ELi5ELi4EEEElEENS3_INS4_IJNS5_IS6_NS4_IJiS8_EEELb0EEESE_SG_EEENS4_IJSJ_SL_SK_EEESQ_SR_lEENS3_INS4_IJSU_SG_SG_EEESW_NS4_IJSN_NSI_IJLi3EEEENSI_IJLi4EEEEEEESO_lEELi128ELi128ELi16ELi4ELi4ELi4ELi1ENSI_IJLi8ELi2EEEES13_NSI_IJLi2ELi1ELi4ELi4EEEENSI_IJLi8ELi1ELi32ELi1EEEENSI_IJLi0ELi3ELi1ELi2EEEES16_NSI_IJLi1ELi1ELi4ELi1EEEES16_NSI_IJLi1ELi1ELi4ELi4EEEES14_S15_S16_S16_S17_S16_S18_NSI_IJLi0ELi1ELi2ELi3ELi4ELi5EEEELi5ELi4EEEaaNS3_INS4_IJSA_SE_SG_SG_NSB_INS4_IJiNS7_IiLi128EEEEEELb0EEENSF_ISC_EEEEENS4_IJSJ_SK_SL_SZ_SP_S10_EEENS4_IJSN_SO_SP_NSI_IJLi6EEEENSI_IJLi7ELi8EEEENSI_IJLi9EEEEEEENSI_IJLi6ELi7ELi8ELi9EEEElEENS3_INS4_IJSU_SE_SG_SG_S1D_S1E_EEENS4_IJSJ_SL_SK_SZ_SP_S10_EEES1K_S1L_lEENS3_INS4_IJSU_SG_SG_NSB_INS4_IJiNS7_IiLi2EEENS7_IiLi64EEEEEELb0EEES1T_EEENS4_IJSJ_SL_SK_SZ_S10_EEENS4_IJSN_SZ_S10_NSI_IJLi5ELi6ELi7EEEENSI_IJLi8ELi9ELi10EEEEEEENSI_IJLi5ELi6ELi7ELi8ELi9ELi10EEEElEENS_31BlockToCTileMap_M00_N00_M01_N01ILi128ELi128ES12_Lb0EEELb1ELb1EEEvPKT0_S25_PT1_T2_T3_T4_T5_.num_agpr, 0
	.set _ZN2ck19kernel_gemm_dl_v1r3INS_28GridwiseGemmDl_km_kn_mn_v1r3ILi256EaiaLNS_25InMemoryDataOperationEnumE0ENS_16TensorDescriptorINS_5TupleIJNS_5EmbedINS4_IJiiEEENS4_IJNS_17integral_constantIiLi1EEEiEEELb0EEENS_7UnMergeINS4_IJiNS7_IiLi4EEEEEELb0EEENS_11PassThroughIiEEEEENS4_IJNS_8SequenceIJLi0EEEENSI_IJLi2EEEENSI_IJLi1EEEEEEENS4_IJNSI_IJLi1ELi2EEEENSI_IJLi3ELi4EEEENSI_IJLi5EEEEEEENSI_IJLi3ELi5ELi4EEEElEENS3_INS4_IJNS5_IS6_NS4_IJiS8_EEELb0EEESE_SG_EEENS4_IJSJ_SL_SK_EEESQ_SR_lEENS3_INS4_IJSU_SG_SG_EEESW_NS4_IJSN_NSI_IJLi3EEEENSI_IJLi4EEEEEEESO_lEELi128ELi128ELi16ELi4ELi4ELi4ELi1ENSI_IJLi8ELi2EEEES13_NSI_IJLi2ELi1ELi4ELi4EEEENSI_IJLi8ELi1ELi32ELi1EEEENSI_IJLi0ELi3ELi1ELi2EEEES16_NSI_IJLi1ELi1ELi4ELi1EEEES16_NSI_IJLi1ELi1ELi4ELi4EEEES14_S15_S16_S16_S17_S16_S18_NSI_IJLi0ELi1ELi2ELi3ELi4ELi5EEEELi5ELi4EEEaaNS3_INS4_IJSA_SE_SG_SG_NSB_INS4_IJiNS7_IiLi128EEEEEELb0EEENSF_ISC_EEEEENS4_IJSJ_SK_SL_SZ_SP_S10_EEENS4_IJSN_SO_SP_NSI_IJLi6EEEENSI_IJLi7ELi8EEEENSI_IJLi9EEEEEEENSI_IJLi6ELi7ELi8ELi9EEEElEENS3_INS4_IJSU_SE_SG_SG_S1D_S1E_EEENS4_IJSJ_SL_SK_SZ_SP_S10_EEES1K_S1L_lEENS3_INS4_IJSU_SG_SG_NSB_INS4_IJiNS7_IiLi2EEENS7_IiLi64EEEEEELb0EEES1T_EEENS4_IJSJ_SL_SK_SZ_S10_EEENS4_IJSN_SZ_S10_NSI_IJLi5ELi6ELi7EEEENSI_IJLi8ELi9ELi10EEEEEEENSI_IJLi5ELi6ELi7ELi8ELi9ELi10EEEElEENS_31BlockToCTileMap_M00_N00_M01_N01ILi128ELi128ES12_Lb0EEELb1ELb1EEEvPKT0_S25_PT1_T2_T3_T4_T5_.numbered_sgpr, 30
	.set _ZN2ck19kernel_gemm_dl_v1r3INS_28GridwiseGemmDl_km_kn_mn_v1r3ILi256EaiaLNS_25InMemoryDataOperationEnumE0ENS_16TensorDescriptorINS_5TupleIJNS_5EmbedINS4_IJiiEEENS4_IJNS_17integral_constantIiLi1EEEiEEELb0EEENS_7UnMergeINS4_IJiNS7_IiLi4EEEEEELb0EEENS_11PassThroughIiEEEEENS4_IJNS_8SequenceIJLi0EEEENSI_IJLi2EEEENSI_IJLi1EEEEEEENS4_IJNSI_IJLi1ELi2EEEENSI_IJLi3ELi4EEEENSI_IJLi5EEEEEEENSI_IJLi3ELi5ELi4EEEElEENS3_INS4_IJNS5_IS6_NS4_IJiS8_EEELb0EEESE_SG_EEENS4_IJSJ_SL_SK_EEESQ_SR_lEENS3_INS4_IJSU_SG_SG_EEESW_NS4_IJSN_NSI_IJLi3EEEENSI_IJLi4EEEEEEESO_lEELi128ELi128ELi16ELi4ELi4ELi4ELi1ENSI_IJLi8ELi2EEEES13_NSI_IJLi2ELi1ELi4ELi4EEEENSI_IJLi8ELi1ELi32ELi1EEEENSI_IJLi0ELi3ELi1ELi2EEEES16_NSI_IJLi1ELi1ELi4ELi1EEEES16_NSI_IJLi1ELi1ELi4ELi4EEEES14_S15_S16_S16_S17_S16_S18_NSI_IJLi0ELi1ELi2ELi3ELi4ELi5EEEELi5ELi4EEEaaNS3_INS4_IJSA_SE_SG_SG_NSB_INS4_IJiNS7_IiLi128EEEEEELb0EEENSF_ISC_EEEEENS4_IJSJ_SK_SL_SZ_SP_S10_EEENS4_IJSN_SO_SP_NSI_IJLi6EEEENSI_IJLi7ELi8EEEENSI_IJLi9EEEEEEENSI_IJLi6ELi7ELi8ELi9EEEElEENS3_INS4_IJSU_SE_SG_SG_S1D_S1E_EEENS4_IJSJ_SL_SK_SZ_SP_S10_EEES1K_S1L_lEENS3_INS4_IJSU_SG_SG_NSB_INS4_IJiNS7_IiLi2EEENS7_IiLi64EEEEEELb0EEES1T_EEENS4_IJSJ_SL_SK_SZ_S10_EEENS4_IJSN_SZ_S10_NSI_IJLi5ELi6ELi7EEEENSI_IJLi8ELi9ELi10EEEEEEENSI_IJLi5ELi6ELi7ELi8ELi9ELi10EEEElEENS_31BlockToCTileMap_M00_N00_M01_N01ILi128ELi128ES12_Lb0EEELb1ELb1EEEvPKT0_S25_PT1_T2_T3_T4_T5_.num_named_barrier, 0
	.set _ZN2ck19kernel_gemm_dl_v1r3INS_28GridwiseGemmDl_km_kn_mn_v1r3ILi256EaiaLNS_25InMemoryDataOperationEnumE0ENS_16TensorDescriptorINS_5TupleIJNS_5EmbedINS4_IJiiEEENS4_IJNS_17integral_constantIiLi1EEEiEEELb0EEENS_7UnMergeINS4_IJiNS7_IiLi4EEEEEELb0EEENS_11PassThroughIiEEEEENS4_IJNS_8SequenceIJLi0EEEENSI_IJLi2EEEENSI_IJLi1EEEEEEENS4_IJNSI_IJLi1ELi2EEEENSI_IJLi3ELi4EEEENSI_IJLi5EEEEEEENSI_IJLi3ELi5ELi4EEEElEENS3_INS4_IJNS5_IS6_NS4_IJiS8_EEELb0EEESE_SG_EEENS4_IJSJ_SL_SK_EEESQ_SR_lEENS3_INS4_IJSU_SG_SG_EEESW_NS4_IJSN_NSI_IJLi3EEEENSI_IJLi4EEEEEEESO_lEELi128ELi128ELi16ELi4ELi4ELi4ELi1ENSI_IJLi8ELi2EEEES13_NSI_IJLi2ELi1ELi4ELi4EEEENSI_IJLi8ELi1ELi32ELi1EEEENSI_IJLi0ELi3ELi1ELi2EEEES16_NSI_IJLi1ELi1ELi4ELi1EEEES16_NSI_IJLi1ELi1ELi4ELi4EEEES14_S15_S16_S16_S17_S16_S18_NSI_IJLi0ELi1ELi2ELi3ELi4ELi5EEEELi5ELi4EEEaaNS3_INS4_IJSA_SE_SG_SG_NSB_INS4_IJiNS7_IiLi128EEEEEELb0EEENSF_ISC_EEEEENS4_IJSJ_SK_SL_SZ_SP_S10_EEENS4_IJSN_SO_SP_NSI_IJLi6EEEENSI_IJLi7ELi8EEEENSI_IJLi9EEEEEEENSI_IJLi6ELi7ELi8ELi9EEEElEENS3_INS4_IJSU_SE_SG_SG_S1D_S1E_EEENS4_IJSJ_SL_SK_SZ_SP_S10_EEES1K_S1L_lEENS3_INS4_IJSU_SG_SG_NSB_INS4_IJiNS7_IiLi2EEENS7_IiLi64EEEEEELb0EEES1T_EEENS4_IJSJ_SL_SK_SZ_S10_EEENS4_IJSN_SZ_S10_NSI_IJLi5ELi6ELi7EEEENSI_IJLi8ELi9ELi10EEEEEEENSI_IJLi5ELi6ELi7ELi8ELi9ELi10EEEElEENS_31BlockToCTileMap_M00_N00_M01_N01ILi128ELi128ES12_Lb0EEELb1ELb1EEEvPKT0_S25_PT1_T2_T3_T4_T5_.private_seg_size, 0
	.set _ZN2ck19kernel_gemm_dl_v1r3INS_28GridwiseGemmDl_km_kn_mn_v1r3ILi256EaiaLNS_25InMemoryDataOperationEnumE0ENS_16TensorDescriptorINS_5TupleIJNS_5EmbedINS4_IJiiEEENS4_IJNS_17integral_constantIiLi1EEEiEEELb0EEENS_7UnMergeINS4_IJiNS7_IiLi4EEEEEELb0EEENS_11PassThroughIiEEEEENS4_IJNS_8SequenceIJLi0EEEENSI_IJLi2EEEENSI_IJLi1EEEEEEENS4_IJNSI_IJLi1ELi2EEEENSI_IJLi3ELi4EEEENSI_IJLi5EEEEEEENSI_IJLi3ELi5ELi4EEEElEENS3_INS4_IJNS5_IS6_NS4_IJiS8_EEELb0EEESE_SG_EEENS4_IJSJ_SL_SK_EEESQ_SR_lEENS3_INS4_IJSU_SG_SG_EEESW_NS4_IJSN_NSI_IJLi3EEEENSI_IJLi4EEEEEEESO_lEELi128ELi128ELi16ELi4ELi4ELi4ELi1ENSI_IJLi8ELi2EEEES13_NSI_IJLi2ELi1ELi4ELi4EEEENSI_IJLi8ELi1ELi32ELi1EEEENSI_IJLi0ELi3ELi1ELi2EEEES16_NSI_IJLi1ELi1ELi4ELi1EEEES16_NSI_IJLi1ELi1ELi4ELi4EEEES14_S15_S16_S16_S17_S16_S18_NSI_IJLi0ELi1ELi2ELi3ELi4ELi5EEEELi5ELi4EEEaaNS3_INS4_IJSA_SE_SG_SG_NSB_INS4_IJiNS7_IiLi128EEEEEELb0EEENSF_ISC_EEEEENS4_IJSJ_SK_SL_SZ_SP_S10_EEENS4_IJSN_SO_SP_NSI_IJLi6EEEENSI_IJLi7ELi8EEEENSI_IJLi9EEEEEEENSI_IJLi6ELi7ELi8ELi9EEEElEENS3_INS4_IJSU_SE_SG_SG_S1D_S1E_EEENS4_IJSJ_SL_SK_SZ_SP_S10_EEES1K_S1L_lEENS3_INS4_IJSU_SG_SG_NSB_INS4_IJiNS7_IiLi2EEENS7_IiLi64EEEEEELb0EEES1T_EEENS4_IJSJ_SL_SK_SZ_S10_EEENS4_IJSN_SZ_S10_NSI_IJLi5ELi6ELi7EEEENSI_IJLi8ELi9ELi10EEEEEEENSI_IJLi5ELi6ELi7ELi8ELi9ELi10EEEElEENS_31BlockToCTileMap_M00_N00_M01_N01ILi128ELi128ES12_Lb0EEELb1ELb1EEEvPKT0_S25_PT1_T2_T3_T4_T5_.uses_vcc, 1
	.set _ZN2ck19kernel_gemm_dl_v1r3INS_28GridwiseGemmDl_km_kn_mn_v1r3ILi256EaiaLNS_25InMemoryDataOperationEnumE0ENS_16TensorDescriptorINS_5TupleIJNS_5EmbedINS4_IJiiEEENS4_IJNS_17integral_constantIiLi1EEEiEEELb0EEENS_7UnMergeINS4_IJiNS7_IiLi4EEEEEELb0EEENS_11PassThroughIiEEEEENS4_IJNS_8SequenceIJLi0EEEENSI_IJLi2EEEENSI_IJLi1EEEEEEENS4_IJNSI_IJLi1ELi2EEEENSI_IJLi3ELi4EEEENSI_IJLi5EEEEEEENSI_IJLi3ELi5ELi4EEEElEENS3_INS4_IJNS5_IS6_NS4_IJiS8_EEELb0EEESE_SG_EEENS4_IJSJ_SL_SK_EEESQ_SR_lEENS3_INS4_IJSU_SG_SG_EEESW_NS4_IJSN_NSI_IJLi3EEEENSI_IJLi4EEEEEEESO_lEELi128ELi128ELi16ELi4ELi4ELi4ELi1ENSI_IJLi8ELi2EEEES13_NSI_IJLi2ELi1ELi4ELi4EEEENSI_IJLi8ELi1ELi32ELi1EEEENSI_IJLi0ELi3ELi1ELi2EEEES16_NSI_IJLi1ELi1ELi4ELi1EEEES16_NSI_IJLi1ELi1ELi4ELi4EEEES14_S15_S16_S16_S17_S16_S18_NSI_IJLi0ELi1ELi2ELi3ELi4ELi5EEEELi5ELi4EEEaaNS3_INS4_IJSA_SE_SG_SG_NSB_INS4_IJiNS7_IiLi128EEEEEELb0EEENSF_ISC_EEEEENS4_IJSJ_SK_SL_SZ_SP_S10_EEENS4_IJSN_SO_SP_NSI_IJLi6EEEENSI_IJLi7ELi8EEEENSI_IJLi9EEEEEEENSI_IJLi6ELi7ELi8ELi9EEEElEENS3_INS4_IJSU_SE_SG_SG_S1D_S1E_EEENS4_IJSJ_SL_SK_SZ_SP_S10_EEES1K_S1L_lEENS3_INS4_IJSU_SG_SG_NSB_INS4_IJiNS7_IiLi2EEENS7_IiLi64EEEEEELb0EEES1T_EEENS4_IJSJ_SL_SK_SZ_S10_EEENS4_IJSN_SZ_S10_NSI_IJLi5ELi6ELi7EEEENSI_IJLi8ELi9ELi10EEEEEEENSI_IJLi5ELi6ELi7ELi8ELi9ELi10EEEElEENS_31BlockToCTileMap_M00_N00_M01_N01ILi128ELi128ES12_Lb0EEELb1ELb1EEEvPKT0_S25_PT1_T2_T3_T4_T5_.uses_flat_scratch, 0
	.set _ZN2ck19kernel_gemm_dl_v1r3INS_28GridwiseGemmDl_km_kn_mn_v1r3ILi256EaiaLNS_25InMemoryDataOperationEnumE0ENS_16TensorDescriptorINS_5TupleIJNS_5EmbedINS4_IJiiEEENS4_IJNS_17integral_constantIiLi1EEEiEEELb0EEENS_7UnMergeINS4_IJiNS7_IiLi4EEEEEELb0EEENS_11PassThroughIiEEEEENS4_IJNS_8SequenceIJLi0EEEENSI_IJLi2EEEENSI_IJLi1EEEEEEENS4_IJNSI_IJLi1ELi2EEEENSI_IJLi3ELi4EEEENSI_IJLi5EEEEEEENSI_IJLi3ELi5ELi4EEEElEENS3_INS4_IJNS5_IS6_NS4_IJiS8_EEELb0EEESE_SG_EEENS4_IJSJ_SL_SK_EEESQ_SR_lEENS3_INS4_IJSU_SG_SG_EEESW_NS4_IJSN_NSI_IJLi3EEEENSI_IJLi4EEEEEEESO_lEELi128ELi128ELi16ELi4ELi4ELi4ELi1ENSI_IJLi8ELi2EEEES13_NSI_IJLi2ELi1ELi4ELi4EEEENSI_IJLi8ELi1ELi32ELi1EEEENSI_IJLi0ELi3ELi1ELi2EEEES16_NSI_IJLi1ELi1ELi4ELi1EEEES16_NSI_IJLi1ELi1ELi4ELi4EEEES14_S15_S16_S16_S17_S16_S18_NSI_IJLi0ELi1ELi2ELi3ELi4ELi5EEEELi5ELi4EEEaaNS3_INS4_IJSA_SE_SG_SG_NSB_INS4_IJiNS7_IiLi128EEEEEELb0EEENSF_ISC_EEEEENS4_IJSJ_SK_SL_SZ_SP_S10_EEENS4_IJSN_SO_SP_NSI_IJLi6EEEENSI_IJLi7ELi8EEEENSI_IJLi9EEEEEEENSI_IJLi6ELi7ELi8ELi9EEEElEENS3_INS4_IJSU_SE_SG_SG_S1D_S1E_EEENS4_IJSJ_SL_SK_SZ_SP_S10_EEES1K_S1L_lEENS3_INS4_IJSU_SG_SG_NSB_INS4_IJiNS7_IiLi2EEENS7_IiLi64EEEEEELb0EEES1T_EEENS4_IJSJ_SL_SK_SZ_S10_EEENS4_IJSN_SZ_S10_NSI_IJLi5ELi6ELi7EEEENSI_IJLi8ELi9ELi10EEEEEEENSI_IJLi5ELi6ELi7ELi8ELi9ELi10EEEElEENS_31BlockToCTileMap_M00_N00_M01_N01ILi128ELi128ES12_Lb0EEELb1ELb1EEEvPKT0_S25_PT1_T2_T3_T4_T5_.has_dyn_sized_stack, 0
	.set _ZN2ck19kernel_gemm_dl_v1r3INS_28GridwiseGemmDl_km_kn_mn_v1r3ILi256EaiaLNS_25InMemoryDataOperationEnumE0ENS_16TensorDescriptorINS_5TupleIJNS_5EmbedINS4_IJiiEEENS4_IJNS_17integral_constantIiLi1EEEiEEELb0EEENS_7UnMergeINS4_IJiNS7_IiLi4EEEEEELb0EEENS_11PassThroughIiEEEEENS4_IJNS_8SequenceIJLi0EEEENSI_IJLi2EEEENSI_IJLi1EEEEEEENS4_IJNSI_IJLi1ELi2EEEENSI_IJLi3ELi4EEEENSI_IJLi5EEEEEEENSI_IJLi3ELi5ELi4EEEElEENS3_INS4_IJNS5_IS6_NS4_IJiS8_EEELb0EEESE_SG_EEENS4_IJSJ_SL_SK_EEESQ_SR_lEENS3_INS4_IJSU_SG_SG_EEESW_NS4_IJSN_NSI_IJLi3EEEENSI_IJLi4EEEEEEESO_lEELi128ELi128ELi16ELi4ELi4ELi4ELi1ENSI_IJLi8ELi2EEEES13_NSI_IJLi2ELi1ELi4ELi4EEEENSI_IJLi8ELi1ELi32ELi1EEEENSI_IJLi0ELi3ELi1ELi2EEEES16_NSI_IJLi1ELi1ELi4ELi1EEEES16_NSI_IJLi1ELi1ELi4ELi4EEEES14_S15_S16_S16_S17_S16_S18_NSI_IJLi0ELi1ELi2ELi3ELi4ELi5EEEELi5ELi4EEEaaNS3_INS4_IJSA_SE_SG_SG_NSB_INS4_IJiNS7_IiLi128EEEEEELb0EEENSF_ISC_EEEEENS4_IJSJ_SK_SL_SZ_SP_S10_EEENS4_IJSN_SO_SP_NSI_IJLi6EEEENSI_IJLi7ELi8EEEENSI_IJLi9EEEEEEENSI_IJLi6ELi7ELi8ELi9EEEElEENS3_INS4_IJSU_SE_SG_SG_S1D_S1E_EEENS4_IJSJ_SL_SK_SZ_SP_S10_EEES1K_S1L_lEENS3_INS4_IJSU_SG_SG_NSB_INS4_IJiNS7_IiLi2EEENS7_IiLi64EEEEEELb0EEES1T_EEENS4_IJSJ_SL_SK_SZ_S10_EEENS4_IJSN_SZ_S10_NSI_IJLi5ELi6ELi7EEEENSI_IJLi8ELi9ELi10EEEEEEENSI_IJLi5ELi6ELi7ELi8ELi9ELi10EEEElEENS_31BlockToCTileMap_M00_N00_M01_N01ILi128ELi128ES12_Lb0EEELb1ELb1EEEvPKT0_S25_PT1_T2_T3_T4_T5_.has_recursion, 0
	.set _ZN2ck19kernel_gemm_dl_v1r3INS_28GridwiseGemmDl_km_kn_mn_v1r3ILi256EaiaLNS_25InMemoryDataOperationEnumE0ENS_16TensorDescriptorINS_5TupleIJNS_5EmbedINS4_IJiiEEENS4_IJNS_17integral_constantIiLi1EEEiEEELb0EEENS_7UnMergeINS4_IJiNS7_IiLi4EEEEEELb0EEENS_11PassThroughIiEEEEENS4_IJNS_8SequenceIJLi0EEEENSI_IJLi2EEEENSI_IJLi1EEEEEEENS4_IJNSI_IJLi1ELi2EEEENSI_IJLi3ELi4EEEENSI_IJLi5EEEEEEENSI_IJLi3ELi5ELi4EEEElEENS3_INS4_IJNS5_IS6_NS4_IJiS8_EEELb0EEESE_SG_EEENS4_IJSJ_SL_SK_EEESQ_SR_lEENS3_INS4_IJSU_SG_SG_EEESW_NS4_IJSN_NSI_IJLi3EEEENSI_IJLi4EEEEEEESO_lEELi128ELi128ELi16ELi4ELi4ELi4ELi1ENSI_IJLi8ELi2EEEES13_NSI_IJLi2ELi1ELi4ELi4EEEENSI_IJLi8ELi1ELi32ELi1EEEENSI_IJLi0ELi3ELi1ELi2EEEES16_NSI_IJLi1ELi1ELi4ELi1EEEES16_NSI_IJLi1ELi1ELi4ELi4EEEES14_S15_S16_S16_S17_S16_S18_NSI_IJLi0ELi1ELi2ELi3ELi4ELi5EEEELi5ELi4EEEaaNS3_INS4_IJSA_SE_SG_SG_NSB_INS4_IJiNS7_IiLi128EEEEEELb0EEENSF_ISC_EEEEENS4_IJSJ_SK_SL_SZ_SP_S10_EEENS4_IJSN_SO_SP_NSI_IJLi6EEEENSI_IJLi7ELi8EEEENSI_IJLi9EEEEEEENSI_IJLi6ELi7ELi8ELi9EEEElEENS3_INS4_IJSU_SE_SG_SG_S1D_S1E_EEENS4_IJSJ_SL_SK_SZ_SP_S10_EEES1K_S1L_lEENS3_INS4_IJSU_SG_SG_NSB_INS4_IJiNS7_IiLi2EEENS7_IiLi64EEEEEELb0EEES1T_EEENS4_IJSJ_SL_SK_SZ_S10_EEENS4_IJSN_SZ_S10_NSI_IJLi5ELi6ELi7EEEENSI_IJLi8ELi9ELi10EEEEEEENSI_IJLi5ELi6ELi7ELi8ELi9ELi10EEEElEENS_31BlockToCTileMap_M00_N00_M01_N01ILi128ELi128ES12_Lb0EEELb1ELb1EEEvPKT0_S25_PT1_T2_T3_T4_T5_.has_indirect_call, 0
	.section	.AMDGPU.csdata,"",@progbits
; Kernel info:
; codeLenInByte = 24596
; TotalNumSgprs: 32
; NumVgprs: 143
; ScratchSize: 0
; MemoryBound: 0
; FloatMode: 240
; IeeeMode: 1
; LDSByteSize: 32768 bytes/workgroup (compile time only)
; SGPRBlocks: 0
; VGPRBlocks: 17
; NumSGPRsForWavesPerEU: 32
; NumVGPRsForWavesPerEU: 143
; Occupancy: 7
; WaveLimiterHint : 0
; COMPUTE_PGM_RSRC2:SCRATCH_EN: 0
; COMPUTE_PGM_RSRC2:USER_SGPR: 6
; COMPUTE_PGM_RSRC2:TRAP_HANDLER: 0
; COMPUTE_PGM_RSRC2:TGID_X_EN: 1
; COMPUTE_PGM_RSRC2:TGID_Y_EN: 0
; COMPUTE_PGM_RSRC2:TGID_Z_EN: 0
; COMPUTE_PGM_RSRC2:TIDIG_COMP_CNT: 0
	.section	.text._ZN2ck19kernel_gemm_dl_v1r3INS_28GridwiseGemmDl_km_kn_mn_v1r3ILi256EaiaLNS_25InMemoryDataOperationEnumE0ENS_16TensorDescriptorINS_5TupleIJNS_5EmbedINS4_IJiiEEENS4_IJNS_17integral_constantIiLi1EEEiEEELb0EEENS_7UnMergeINS4_IJiNS7_IiLi4EEEEEELb0EEENS_11PassThroughIiEEEEENS4_IJNS_8SequenceIJLi0EEEENSI_IJLi2EEEENSI_IJLi1EEEEEEENS4_IJNSI_IJLi1ELi2EEEENSI_IJLi3ELi4EEEENSI_IJLi5EEEEEEENSI_IJLi3ELi5ELi4EEEElEENS3_INS4_IJNS5_IS6_NS4_IJiS8_EEELb0EEESE_SG_EEENS4_IJSJ_SL_SK_EEESQ_SR_lEENS3_INS4_IJSU_SG_SG_EEESW_NS4_IJSN_NSI_IJLi3EEEENSI_IJLi4EEEEEEESO_lEELi128ELi128ELi16ELi4ELi4ELi4ELi1ENSI_IJLi8ELi2EEEES13_NSI_IJLi2ELi1ELi4ELi4EEEENSI_IJLi8ELi1ELi32ELi1EEEENSI_IJLi0ELi3ELi1ELi2EEEES16_NSI_IJLi1ELi1ELi4ELi1EEEES16_NSI_IJLi1ELi1ELi4ELi4EEEES14_S15_S16_S16_S17_S16_S18_NSI_IJLi0ELi1ELi2ELi3ELi4ELi5EEEELi5ELi4EEEaaNS3_INS4_IJSA_SE_SG_SG_NSB_INS4_IJiNS7_IiLi128EEEEEELb0EEENSF_ISC_EEEEENS4_IJSJ_SK_SL_SZ_SP_S10_EEENS4_IJSN_SO_SP_NSI_IJLi6EEEENSI_IJLi7ELi8EEEENSI_IJLi9EEEEEEENSI_IJLi6ELi7ELi8ELi9EEEElEENS3_INS4_IJSU_SE_SG_SG_S1D_S1E_EEENS4_IJSJ_SL_SK_SZ_SP_S10_EEES1K_S1L_lEENS3_INS4_IJSU_SG_SG_NSB_INS4_IJiNS7_IiLi2EEENS7_IiLi64EEEEEELb0EEES1T_EEENS4_IJSJ_SL_SK_SZ_S10_EEENS4_IJSN_SZ_S10_NSI_IJLi5ELi6ELi7EEEENSI_IJLi8ELi9ELi10EEEEEEENSI_IJLi5ELi6ELi7ELi8ELi9ELi10EEEElEENS_31BlockToCTileMap_M00_N00_M01_N01ILi128ELi128ES12_Lb0EEELb1ELb0EEEvPKT0_S25_PT1_T2_T3_T4_T5_,"axG",@progbits,_ZN2ck19kernel_gemm_dl_v1r3INS_28GridwiseGemmDl_km_kn_mn_v1r3ILi256EaiaLNS_25InMemoryDataOperationEnumE0ENS_16TensorDescriptorINS_5TupleIJNS_5EmbedINS4_IJiiEEENS4_IJNS_17integral_constantIiLi1EEEiEEELb0EEENS_7UnMergeINS4_IJiNS7_IiLi4EEEEEELb0EEENS_11PassThroughIiEEEEENS4_IJNS_8SequenceIJLi0EEEENSI_IJLi2EEEENSI_IJLi1EEEEEEENS4_IJNSI_IJLi1ELi2EEEENSI_IJLi3ELi4EEEENSI_IJLi5EEEEEEENSI_IJLi3ELi5ELi4EEEElEENS3_INS4_IJNS5_IS6_NS4_IJiS8_EEELb0EEESE_SG_EEENS4_IJSJ_SL_SK_EEESQ_SR_lEENS3_INS4_IJSU_SG_SG_EEESW_NS4_IJSN_NSI_IJLi3EEEENSI_IJLi4EEEEEEESO_lEELi128ELi128ELi16ELi4ELi4ELi4ELi1ENSI_IJLi8ELi2EEEES13_NSI_IJLi2ELi1ELi4ELi4EEEENSI_IJLi8ELi1ELi32ELi1EEEENSI_IJLi0ELi3ELi1ELi2EEEES16_NSI_IJLi1ELi1ELi4ELi1EEEES16_NSI_IJLi1ELi1ELi4ELi4EEEES14_S15_S16_S16_S17_S16_S18_NSI_IJLi0ELi1ELi2ELi3ELi4ELi5EEEELi5ELi4EEEaaNS3_INS4_IJSA_SE_SG_SG_NSB_INS4_IJiNS7_IiLi128EEEEEELb0EEENSF_ISC_EEEEENS4_IJSJ_SK_SL_SZ_SP_S10_EEENS4_IJSN_SO_SP_NSI_IJLi6EEEENSI_IJLi7ELi8EEEENSI_IJLi9EEEEEEENSI_IJLi6ELi7ELi8ELi9EEEElEENS3_INS4_IJSU_SE_SG_SG_S1D_S1E_EEENS4_IJSJ_SL_SK_SZ_SP_S10_EEES1K_S1L_lEENS3_INS4_IJSU_SG_SG_NSB_INS4_IJiNS7_IiLi2EEENS7_IiLi64EEEEEELb0EEES1T_EEENS4_IJSJ_SL_SK_SZ_S10_EEENS4_IJSN_SZ_S10_NSI_IJLi5ELi6ELi7EEEENSI_IJLi8ELi9ELi10EEEEEEENSI_IJLi5ELi6ELi7ELi8ELi9ELi10EEEElEENS_31BlockToCTileMap_M00_N00_M01_N01ILi128ELi128ES12_Lb0EEELb1ELb0EEEvPKT0_S25_PT1_T2_T3_T4_T5_,comdat
	.protected	_ZN2ck19kernel_gemm_dl_v1r3INS_28GridwiseGemmDl_km_kn_mn_v1r3ILi256EaiaLNS_25InMemoryDataOperationEnumE0ENS_16TensorDescriptorINS_5TupleIJNS_5EmbedINS4_IJiiEEENS4_IJNS_17integral_constantIiLi1EEEiEEELb0EEENS_7UnMergeINS4_IJiNS7_IiLi4EEEEEELb0EEENS_11PassThroughIiEEEEENS4_IJNS_8SequenceIJLi0EEEENSI_IJLi2EEEENSI_IJLi1EEEEEEENS4_IJNSI_IJLi1ELi2EEEENSI_IJLi3ELi4EEEENSI_IJLi5EEEEEEENSI_IJLi3ELi5ELi4EEEElEENS3_INS4_IJNS5_IS6_NS4_IJiS8_EEELb0EEESE_SG_EEENS4_IJSJ_SL_SK_EEESQ_SR_lEENS3_INS4_IJSU_SG_SG_EEESW_NS4_IJSN_NSI_IJLi3EEEENSI_IJLi4EEEEEEESO_lEELi128ELi128ELi16ELi4ELi4ELi4ELi1ENSI_IJLi8ELi2EEEES13_NSI_IJLi2ELi1ELi4ELi4EEEENSI_IJLi8ELi1ELi32ELi1EEEENSI_IJLi0ELi3ELi1ELi2EEEES16_NSI_IJLi1ELi1ELi4ELi1EEEES16_NSI_IJLi1ELi1ELi4ELi4EEEES14_S15_S16_S16_S17_S16_S18_NSI_IJLi0ELi1ELi2ELi3ELi4ELi5EEEELi5ELi4EEEaaNS3_INS4_IJSA_SE_SG_SG_NSB_INS4_IJiNS7_IiLi128EEEEEELb0EEENSF_ISC_EEEEENS4_IJSJ_SK_SL_SZ_SP_S10_EEENS4_IJSN_SO_SP_NSI_IJLi6EEEENSI_IJLi7ELi8EEEENSI_IJLi9EEEEEEENSI_IJLi6ELi7ELi8ELi9EEEElEENS3_INS4_IJSU_SE_SG_SG_S1D_S1E_EEENS4_IJSJ_SL_SK_SZ_SP_S10_EEES1K_S1L_lEENS3_INS4_IJSU_SG_SG_NSB_INS4_IJiNS7_IiLi2EEENS7_IiLi64EEEEEELb0EEES1T_EEENS4_IJSJ_SL_SK_SZ_S10_EEENS4_IJSN_SZ_S10_NSI_IJLi5ELi6ELi7EEEENSI_IJLi8ELi9ELi10EEEEEEENSI_IJLi5ELi6ELi7ELi8ELi9ELi10EEEElEENS_31BlockToCTileMap_M00_N00_M01_N01ILi128ELi128ES12_Lb0EEELb1ELb0EEEvPKT0_S25_PT1_T2_T3_T4_T5_ ; -- Begin function _ZN2ck19kernel_gemm_dl_v1r3INS_28GridwiseGemmDl_km_kn_mn_v1r3ILi256EaiaLNS_25InMemoryDataOperationEnumE0ENS_16TensorDescriptorINS_5TupleIJNS_5EmbedINS4_IJiiEEENS4_IJNS_17integral_constantIiLi1EEEiEEELb0EEENS_7UnMergeINS4_IJiNS7_IiLi4EEEEEELb0EEENS_11PassThroughIiEEEEENS4_IJNS_8SequenceIJLi0EEEENSI_IJLi2EEEENSI_IJLi1EEEEEEENS4_IJNSI_IJLi1ELi2EEEENSI_IJLi3ELi4EEEENSI_IJLi5EEEEEEENSI_IJLi3ELi5ELi4EEEElEENS3_INS4_IJNS5_IS6_NS4_IJiS8_EEELb0EEESE_SG_EEENS4_IJSJ_SL_SK_EEESQ_SR_lEENS3_INS4_IJSU_SG_SG_EEESW_NS4_IJSN_NSI_IJLi3EEEENSI_IJLi4EEEEEEESO_lEELi128ELi128ELi16ELi4ELi4ELi4ELi1ENSI_IJLi8ELi2EEEES13_NSI_IJLi2ELi1ELi4ELi4EEEENSI_IJLi8ELi1ELi32ELi1EEEENSI_IJLi0ELi3ELi1ELi2EEEES16_NSI_IJLi1ELi1ELi4ELi1EEEES16_NSI_IJLi1ELi1ELi4ELi4EEEES14_S15_S16_S16_S17_S16_S18_NSI_IJLi0ELi1ELi2ELi3ELi4ELi5EEEELi5ELi4EEEaaNS3_INS4_IJSA_SE_SG_SG_NSB_INS4_IJiNS7_IiLi128EEEEEELb0EEENSF_ISC_EEEEENS4_IJSJ_SK_SL_SZ_SP_S10_EEENS4_IJSN_SO_SP_NSI_IJLi6EEEENSI_IJLi7ELi8EEEENSI_IJLi9EEEEEEENSI_IJLi6ELi7ELi8ELi9EEEElEENS3_INS4_IJSU_SE_SG_SG_S1D_S1E_EEENS4_IJSJ_SL_SK_SZ_SP_S10_EEES1K_S1L_lEENS3_INS4_IJSU_SG_SG_NSB_INS4_IJiNS7_IiLi2EEENS7_IiLi64EEEEEELb0EEES1T_EEENS4_IJSJ_SL_SK_SZ_S10_EEENS4_IJSN_SZ_S10_NSI_IJLi5ELi6ELi7EEEENSI_IJLi8ELi9ELi10EEEEEEENSI_IJLi5ELi6ELi7ELi8ELi9ELi10EEEElEENS_31BlockToCTileMap_M00_N00_M01_N01ILi128ELi128ES12_Lb0EEELb1ELb0EEEvPKT0_S25_PT1_T2_T3_T4_T5_
	.globl	_ZN2ck19kernel_gemm_dl_v1r3INS_28GridwiseGemmDl_km_kn_mn_v1r3ILi256EaiaLNS_25InMemoryDataOperationEnumE0ENS_16TensorDescriptorINS_5TupleIJNS_5EmbedINS4_IJiiEEENS4_IJNS_17integral_constantIiLi1EEEiEEELb0EEENS_7UnMergeINS4_IJiNS7_IiLi4EEEEEELb0EEENS_11PassThroughIiEEEEENS4_IJNS_8SequenceIJLi0EEEENSI_IJLi2EEEENSI_IJLi1EEEEEEENS4_IJNSI_IJLi1ELi2EEEENSI_IJLi3ELi4EEEENSI_IJLi5EEEEEEENSI_IJLi3ELi5ELi4EEEElEENS3_INS4_IJNS5_IS6_NS4_IJiS8_EEELb0EEESE_SG_EEENS4_IJSJ_SL_SK_EEESQ_SR_lEENS3_INS4_IJSU_SG_SG_EEESW_NS4_IJSN_NSI_IJLi3EEEENSI_IJLi4EEEEEEESO_lEELi128ELi128ELi16ELi4ELi4ELi4ELi1ENSI_IJLi8ELi2EEEES13_NSI_IJLi2ELi1ELi4ELi4EEEENSI_IJLi8ELi1ELi32ELi1EEEENSI_IJLi0ELi3ELi1ELi2EEEES16_NSI_IJLi1ELi1ELi4ELi1EEEES16_NSI_IJLi1ELi1ELi4ELi4EEEES14_S15_S16_S16_S17_S16_S18_NSI_IJLi0ELi1ELi2ELi3ELi4ELi5EEEELi5ELi4EEEaaNS3_INS4_IJSA_SE_SG_SG_NSB_INS4_IJiNS7_IiLi128EEEEEELb0EEENSF_ISC_EEEEENS4_IJSJ_SK_SL_SZ_SP_S10_EEENS4_IJSN_SO_SP_NSI_IJLi6EEEENSI_IJLi7ELi8EEEENSI_IJLi9EEEEEEENSI_IJLi6ELi7ELi8ELi9EEEElEENS3_INS4_IJSU_SE_SG_SG_S1D_S1E_EEENS4_IJSJ_SL_SK_SZ_SP_S10_EEES1K_S1L_lEENS3_INS4_IJSU_SG_SG_NSB_INS4_IJiNS7_IiLi2EEENS7_IiLi64EEEEEELb0EEES1T_EEENS4_IJSJ_SL_SK_SZ_S10_EEENS4_IJSN_SZ_S10_NSI_IJLi5ELi6ELi7EEEENSI_IJLi8ELi9ELi10EEEEEEENSI_IJLi5ELi6ELi7ELi8ELi9ELi10EEEElEENS_31BlockToCTileMap_M00_N00_M01_N01ILi128ELi128ES12_Lb0EEELb1ELb0EEEvPKT0_S25_PT1_T2_T3_T4_T5_
	.p2align	8
	.type	_ZN2ck19kernel_gemm_dl_v1r3INS_28GridwiseGemmDl_km_kn_mn_v1r3ILi256EaiaLNS_25InMemoryDataOperationEnumE0ENS_16TensorDescriptorINS_5TupleIJNS_5EmbedINS4_IJiiEEENS4_IJNS_17integral_constantIiLi1EEEiEEELb0EEENS_7UnMergeINS4_IJiNS7_IiLi4EEEEEELb0EEENS_11PassThroughIiEEEEENS4_IJNS_8SequenceIJLi0EEEENSI_IJLi2EEEENSI_IJLi1EEEEEEENS4_IJNSI_IJLi1ELi2EEEENSI_IJLi3ELi4EEEENSI_IJLi5EEEEEEENSI_IJLi3ELi5ELi4EEEElEENS3_INS4_IJNS5_IS6_NS4_IJiS8_EEELb0EEESE_SG_EEENS4_IJSJ_SL_SK_EEESQ_SR_lEENS3_INS4_IJSU_SG_SG_EEESW_NS4_IJSN_NSI_IJLi3EEEENSI_IJLi4EEEEEEESO_lEELi128ELi128ELi16ELi4ELi4ELi4ELi1ENSI_IJLi8ELi2EEEES13_NSI_IJLi2ELi1ELi4ELi4EEEENSI_IJLi8ELi1ELi32ELi1EEEENSI_IJLi0ELi3ELi1ELi2EEEES16_NSI_IJLi1ELi1ELi4ELi1EEEES16_NSI_IJLi1ELi1ELi4ELi4EEEES14_S15_S16_S16_S17_S16_S18_NSI_IJLi0ELi1ELi2ELi3ELi4ELi5EEEELi5ELi4EEEaaNS3_INS4_IJSA_SE_SG_SG_NSB_INS4_IJiNS7_IiLi128EEEEEELb0EEENSF_ISC_EEEEENS4_IJSJ_SK_SL_SZ_SP_S10_EEENS4_IJSN_SO_SP_NSI_IJLi6EEEENSI_IJLi7ELi8EEEENSI_IJLi9EEEEEEENSI_IJLi6ELi7ELi8ELi9EEEElEENS3_INS4_IJSU_SE_SG_SG_S1D_S1E_EEENS4_IJSJ_SL_SK_SZ_SP_S10_EEES1K_S1L_lEENS3_INS4_IJSU_SG_SG_NSB_INS4_IJiNS7_IiLi2EEENS7_IiLi64EEEEEELb0EEES1T_EEENS4_IJSJ_SL_SK_SZ_S10_EEENS4_IJSN_SZ_S10_NSI_IJLi5ELi6ELi7EEEENSI_IJLi8ELi9ELi10EEEEEEENSI_IJLi5ELi6ELi7ELi8ELi9ELi10EEEElEENS_31BlockToCTileMap_M00_N00_M01_N01ILi128ELi128ES12_Lb0EEELb1ELb0EEEvPKT0_S25_PT1_T2_T3_T4_T5_,@function
_ZN2ck19kernel_gemm_dl_v1r3INS_28GridwiseGemmDl_km_kn_mn_v1r3ILi256EaiaLNS_25InMemoryDataOperationEnumE0ENS_16TensorDescriptorINS_5TupleIJNS_5EmbedINS4_IJiiEEENS4_IJNS_17integral_constantIiLi1EEEiEEELb0EEENS_7UnMergeINS4_IJiNS7_IiLi4EEEEEELb0EEENS_11PassThroughIiEEEEENS4_IJNS_8SequenceIJLi0EEEENSI_IJLi2EEEENSI_IJLi1EEEEEEENS4_IJNSI_IJLi1ELi2EEEENSI_IJLi3ELi4EEEENSI_IJLi5EEEEEEENSI_IJLi3ELi5ELi4EEEElEENS3_INS4_IJNS5_IS6_NS4_IJiS8_EEELb0EEESE_SG_EEENS4_IJSJ_SL_SK_EEESQ_SR_lEENS3_INS4_IJSU_SG_SG_EEESW_NS4_IJSN_NSI_IJLi3EEEENSI_IJLi4EEEEEEESO_lEELi128ELi128ELi16ELi4ELi4ELi4ELi1ENSI_IJLi8ELi2EEEES13_NSI_IJLi2ELi1ELi4ELi4EEEENSI_IJLi8ELi1ELi32ELi1EEEENSI_IJLi0ELi3ELi1ELi2EEEES16_NSI_IJLi1ELi1ELi4ELi1EEEES16_NSI_IJLi1ELi1ELi4ELi4EEEES14_S15_S16_S16_S17_S16_S18_NSI_IJLi0ELi1ELi2ELi3ELi4ELi5EEEELi5ELi4EEEaaNS3_INS4_IJSA_SE_SG_SG_NSB_INS4_IJiNS7_IiLi128EEEEEELb0EEENSF_ISC_EEEEENS4_IJSJ_SK_SL_SZ_SP_S10_EEENS4_IJSN_SO_SP_NSI_IJLi6EEEENSI_IJLi7ELi8EEEENSI_IJLi9EEEEEEENSI_IJLi6ELi7ELi8ELi9EEEElEENS3_INS4_IJSU_SE_SG_SG_S1D_S1E_EEENS4_IJSJ_SL_SK_SZ_SP_S10_EEES1K_S1L_lEENS3_INS4_IJSU_SG_SG_NSB_INS4_IJiNS7_IiLi2EEENS7_IiLi64EEEEEELb0EEES1T_EEENS4_IJSJ_SL_SK_SZ_S10_EEENS4_IJSN_SZ_S10_NSI_IJLi5ELi6ELi7EEEENSI_IJLi8ELi9ELi10EEEEEEENSI_IJLi5ELi6ELi7ELi8ELi9ELi10EEEElEENS_31BlockToCTileMap_M00_N00_M01_N01ILi128ELi128ES12_Lb0EEELb1ELb0EEEvPKT0_S25_PT1_T2_T3_T4_T5_: ; @_ZN2ck19kernel_gemm_dl_v1r3INS_28GridwiseGemmDl_km_kn_mn_v1r3ILi256EaiaLNS_25InMemoryDataOperationEnumE0ENS_16TensorDescriptorINS_5TupleIJNS_5EmbedINS4_IJiiEEENS4_IJNS_17integral_constantIiLi1EEEiEEELb0EEENS_7UnMergeINS4_IJiNS7_IiLi4EEEEEELb0EEENS_11PassThroughIiEEEEENS4_IJNS_8SequenceIJLi0EEEENSI_IJLi2EEEENSI_IJLi1EEEEEEENS4_IJNSI_IJLi1ELi2EEEENSI_IJLi3ELi4EEEENSI_IJLi5EEEEEEENSI_IJLi3ELi5ELi4EEEElEENS3_INS4_IJNS5_IS6_NS4_IJiS8_EEELb0EEESE_SG_EEENS4_IJSJ_SL_SK_EEESQ_SR_lEENS3_INS4_IJSU_SG_SG_EEESW_NS4_IJSN_NSI_IJLi3EEEENSI_IJLi4EEEEEEESO_lEELi128ELi128ELi16ELi4ELi4ELi4ELi1ENSI_IJLi8ELi2EEEES13_NSI_IJLi2ELi1ELi4ELi4EEEENSI_IJLi8ELi1ELi32ELi1EEEENSI_IJLi0ELi3ELi1ELi2EEEES16_NSI_IJLi1ELi1ELi4ELi1EEEES16_NSI_IJLi1ELi1ELi4ELi4EEEES14_S15_S16_S16_S17_S16_S18_NSI_IJLi0ELi1ELi2ELi3ELi4ELi5EEEELi5ELi4EEEaaNS3_INS4_IJSA_SE_SG_SG_NSB_INS4_IJiNS7_IiLi128EEEEEELb0EEENSF_ISC_EEEEENS4_IJSJ_SK_SL_SZ_SP_S10_EEENS4_IJSN_SO_SP_NSI_IJLi6EEEENSI_IJLi7ELi8EEEENSI_IJLi9EEEEEEENSI_IJLi6ELi7ELi8ELi9EEEElEENS3_INS4_IJSU_SE_SG_SG_S1D_S1E_EEENS4_IJSJ_SL_SK_SZ_SP_S10_EEES1K_S1L_lEENS3_INS4_IJSU_SG_SG_NSB_INS4_IJiNS7_IiLi2EEENS7_IiLi64EEEEEELb0EEES1T_EEENS4_IJSJ_SL_SK_SZ_S10_EEENS4_IJSN_SZ_S10_NSI_IJLi5ELi6ELi7EEEENSI_IJLi8ELi9ELi10EEEEEEENSI_IJLi5ELi6ELi7ELi8ELi9ELi10EEEElEENS_31BlockToCTileMap_M00_N00_M01_N01ILi128ELi128ES12_Lb0EEELb1ELb0EEEvPKT0_S25_PT1_T2_T3_T4_T5_
; %bb.0:
	s_clause 0x4
	s_load_dwordx4 s[12:15], s[4:5], 0x11c
	s_load_dwordx4 s[8:11], s[4:5], 0x130
	s_load_dword s28, s[4:5], 0x60
	s_load_dwordx4 s[20:23], s[4:5], 0x108
	s_load_dword s1, s[4:5], 0xfc
	v_lshrrev_b32_e32 v1, 4, v0
	v_lshlrev_b32_e32 v5, 2, v0
	s_load_dwordx4 s[16:19], s[4:5], 0x0
	v_mov_b32_e32 v33, 0
	v_mov_b32_e32 v58, 0
	v_and_b32_e32 v3, 14, v1
	v_and_b32_e32 v100, 0x7c, v5
	v_mov_b32_e32 v60, 0
	v_mov_b32_e32 v52, 0
	;; [unrolled: 1-line block ×3, first 2 shown]
	v_lshlrev_b32_e32 v4, 2, v3
	v_mov_b32_e32 v63, 0
	v_mov_b32_e32 v64, 0
	v_mov_b32_e32 v62, 0
	v_mov_b32_e32 v54, 0
	v_or_b32_e32 v17, 0x84, v4
	s_waitcnt lgkmcnt(0)
	s_mul_hi_u32 s0, s15, s6
	s_mov_b32 s15, 0x31014000
	s_add_i32 s0, s6, s0
	v_mul_lo_u32 v1, s28, v4
	s_lshr_b32 s11, s0, s11
	s_mov_b32 s27, s15
	s_mul_hi_u32 s0, s11, s14
	v_or_b32_e32 v23, 0x85, v4
	s_add_i32 s0, s11, s0
	v_or_b32_e32 v24, 0x86, v4
	s_lshr_b32 s29, s0, s10
	s_clause 0x2
	s_load_dword s10, s[4:5], 0x90
	s_load_dword s7, s[4:5], 0xa0
	s_load_dwordx2 s[2:3], s[4:5], 0xd0
	s_mul_hi_u32 s0, s29, s13
	s_waitcnt lgkmcnt(0)
	s_clause 0x1
	s_load_dword s3, s[4:5], 0xec
	s_load_dword s14, s[4:5], 0x50
	s_add_i32 s0, s29, s0
	v_or_b32_e32 v27, 0x87, v4
	s_lshr_b32 s13, s0, s9
	s_mul_i32 s9, s11, s23
	s_mul_i32 s0, s13, s21
	s_sub_i32 s6, s6, s9
	s_sub_i32 s0, s29, s0
	s_mul_hi_u32 s12, s13, s12
	s_mul_i32 s0, s0, s1
	s_add_i32 s12, s13, s12
	s_add_i32 s6, s6, s0
	s_clause 0x1
	s_load_dword s9, s[4:5], 0x24
	s_load_dwordx2 s[0:1], s[4:5], 0x10
	s_lshl_b32 s6, s6, 7
	s_lshr_b32 s8, s12, s8
	v_add3_u32 v1, v1, v100, s6
	s_mul_i32 s8, s8, s20
	s_mul_i32 s29, s29, s22
	s_sub_i32 s8, s13, s8
	s_sub_i32 s11, s11, s29
	v_add_nc_u32_e32 v2, s28, v1
	s_waitcnt lgkmcnt(0)
	s_mul_i32 s8, s8, s3
	s_load_dword s3, s[4:5], 0x38
	s_and_b32 s19, s19, 0xffff
	s_add_i32 s11, s11, s8
	v_add_nc_u32_e32 v6, s28, v2
	s_mov_b32 s24, s18
	s_mov_b32 s26, s10
	;; [unrolled: 1-line block ×3, first 2 shown]
	s_lshl_b32 s5, s28, 2
	v_add_nc_u32_e32 v7, s28, v6
	s_lshl_b32 s4, s11, 7
	s_clause 0x1
	buffer_load_dword v18, v1, s[24:27], 0 offen
	buffer_load_dword v19, v2, s[24:27], 0 offen
	v_add_nc_u32_e32 v2, s5, v2
	v_add_nc_u32_e32 v8, s5, v1
	v_or_b32_e32 v1, s4, v100
	s_clause 0x1
	buffer_load_dword v20, v6, s[24:27], 0 offen
	buffer_load_dword v21, v7, s[24:27], 0 offen
	v_add_nc_u32_e32 v7, s5, v7
	v_add_nc_u32_e32 v6, s5, v6
	s_clause 0x3
	buffer_load_dword v25, v2, s[24:27], 0 offen
	buffer_load_dword v26, v8, s[24:27], 0 offen
	buffer_load_dword v28, v7, s[24:27], 0 offen
	buffer_load_dword v29, v6, s[24:27], 0 offen
	v_mad_u64_u32 v[1:2], null, s9, v4, v[1:2]
	s_and_b32 s17, s17, 0xffff
	s_mov_b32 s12, s16
	s_mov_b32 s13, s17
	s_lshl_b32 s5, s9, 2
	v_or_b32_e32 v107, 0x83, v4
	v_or_b32_e32 v108, 0x82, v4
	v_add_nc_u32_e32 v2, s9, v1
	v_or_b32_e32 v109, 0x81, v4
	v_or_b32_e32 v110, 0x80, v4
	;; [unrolled: 1-line block ×4, first 2 shown]
	v_add_nc_u32_e32 v6, s9, v2
	v_or_b32_e32 v113, 0x46, v4
	v_or_b32_e32 v114, 0x47, v4
	;; [unrolled: 1-line block ×4, first 2 shown]
	v_add_nc_u32_e32 v7, s9, v6
	s_clause 0x3
	buffer_load_dword v30, v1, s[12:15], 0 offen
	buffer_load_dword v31, v2, s[12:15], 0 offen
	;; [unrolled: 1-line block ×4, first 2 shown]
	v_add_nc_u32_e32 v2, s5, v2
	v_add_nc_u32_e32 v1, s5, v1
	;; [unrolled: 1-line block ×4, first 2 shown]
	s_clause 0x3
	buffer_load_dword v103, v2, s[12:15], 0 offen
	buffer_load_dword v104, v1, s[12:15], 0 offen
	;; [unrolled: 1-line block ×4, first 2 shown]
	v_lshrrev_b32_e32 v1, 5, v0
	v_lshlrev_b32_e32 v0, 1, v0
	v_lshlrev_b32_e32 v7, 2, v100
	v_or_b32_e32 v117, 0x41, v4
	v_or_b32_e32 v118, 64, v4
	v_lshlrev_b32_e32 v2, 6, v1
	v_and_b32_e32 v6, 0x1f8, v0
	v_lshlrev_b32_e32 v1, 3, v1
	v_lshl_or_b32 v101, v3, 9, v7
	s_lshl_b32 s5, s28, 7
	v_mov_b32_e32 v57, 0
	v_sub_nc_u32_e32 v2, v6, v2
	v_and_or_b32 v98, v0, 4, v1
	v_mad_u64_u32 v[0:1], null, s28, v17, s[6:7]
	v_mov_b32_e32 v59, 0
	v_and_or_b32 v94, v5, 4, v2
	v_mad_u64_u32 v[1:2], null, s28, v23, s[6:7]
	v_mad_u64_u32 v[2:3], null, s28, v24, s[6:7]
	v_mad_u64_u32 v[3:4], null, s28, v27, s[6:7]
	v_mad_u64_u32 v[4:5], null, s28, v107, s[6:7]
	v_mad_u64_u32 v[5:6], null, s28, v108, s[6:7]
	v_mad_u64_u32 v[6:7], null, s28, v109, s[6:7]
	v_mad_u64_u32 v[7:8], null, s28, v110, s[6:7]
	v_mad_u64_u32 v[8:9], null, s28, v111, s[6:7]
	v_mad_u64_u32 v[9:10], null, s28, v112, s[6:7]
	v_mad_u64_u32 v[10:11], null, s28, v113, s[6:7]
	v_mad_u64_u32 v[11:12], null, s28, v114, s[6:7]
	v_mad_u64_u32 v[12:13], null, s28, v115, s[6:7]
	v_mad_u64_u32 v[13:14], null, s28, v116, s[6:7]
	v_mad_u64_u32 v[14:15], null, s28, v117, s[6:7]
	v_mad_u64_u32 v[15:16], null, s28, v118, s[6:7]
	v_mad_u64_u32 v[16:17], null, s9, v17, s[4:5]
	v_mov_b32_e32 v56, 0
	v_mov_b32_e32 v49, 0
	;; [unrolled: 1-line block ×53, first 2 shown]
	v_lshlrev_b32_e32 v99, 2, v98
	s_mov_b32 s11, s15
	s_waitcnt lgkmcnt(0)
	s_sub_i32 s3, s3, 32
	s_lshl_b32 s20, s9, 7
	s_mov_b32 s8, s18
	s_waitcnt vmcnt(14)
	v_perm_b32 v17, v18, v19, 0xc0c0004
	v_perm_b32 v22, v18, v19, 0xc0c0105
	;; [unrolled: 1-line block ×4, first 2 shown]
	s_waitcnt vmcnt(12)
	v_perm_b32 v120, v20, v21, 0xc0c0004
	v_perm_b32 v121, v20, v21, 0xc0c0105
	v_perm_b32 v123, v20, v21, 0xc0c0206
	v_perm_b32 v20, v20, v21, 0xc0c0307
	v_lshl_or_b32 v21, v120, 16, v17
	v_mad_u64_u32 v[17:18], null, s9, v23, s[4:5]
	v_lshl_or_b32 v22, v121, 16, v22
	v_mad_u64_u32 v[18:19], null, s9, v24, s[4:5]
	v_lshl_or_b32 v23, v123, 16, v119
	v_lshl_or_b32 v24, v20, 16, v122
	v_mad_u64_u32 v[19:20], null, s9, v27, s[4:5]
	s_waitcnt vmcnt(10)
	v_perm_b32 v27, v26, v25, 0xc0c0004
	v_perm_b32 v119, v26, v25, 0xc0c0105
	s_waitcnt vmcnt(8)
	v_perm_b32 v120, v29, v28, 0xc0c0004
	ds_write_b128 v101, v[21:24] offset:16384
	v_perm_b32 v22, v29, v28, 0xc0c0105
	v_mad_u64_u32 v[20:21], null, s9, v107, s[4:5]
	v_perm_b32 v24, v26, v25, 0xc0c0206
	v_perm_b32 v25, v26, v25, 0xc0c0307
	v_perm_b32 v107, v29, v28, 0xc0c0206
	v_perm_b32 v29, v29, v28, 0xc0c0307
	v_lshl_or_b32 v26, v120, 16, v27
	v_lshl_or_b32 v27, v22, 16, v119
	v_mad_u64_u32 v[21:22], null, s9, v108, s[4:5]
	v_lshl_or_b32 v28, v107, 16, v24
	v_lshl_or_b32 v29, v29, 16, v25
	v_mad_u64_u32 v[22:23], null, s9, v109, s[4:5]
	v_mad_u64_u32 v[23:24], null, s9, v110, s[4:5]
	;; [unrolled: 1-line block ×3, first 2 shown]
	s_waitcnt vmcnt(6)
	v_perm_b32 v25, v30, v31, 0xc0c0004
	v_perm_b32 v107, v30, v31, 0xc0c0105
	ds_write_b128 v101, v[26:29] offset:16896
	v_perm_b32 v28, v30, v31, 0xc0c0206
	s_waitcnt vmcnt(4)
	v_perm_b32 v26, v32, v102, 0xc0c0004
	v_perm_b32 v27, v32, v102, 0xc0c0105
	;; [unrolled: 1-line block ×5, first 2 shown]
	v_lshl_or_b32 v29, v26, 16, v25
	v_lshl_or_b32 v30, v27, 16, v107
	s_waitcnt vmcnt(2)
	v_perm_b32 v102, v104, v103, 0xc0c0004
	v_lshl_or_b32 v31, v31, 16, v28
	v_lshl_or_b32 v32, v32, 16, v108
	s_waitcnt vmcnt(0)
	v_perm_b32 v108, v106, v105, 0xc0c0004
	v_perm_b32 v107, v104, v103, 0xc0c0105
	v_mad_u64_u32 v[25:26], null, s9, v112, s[4:5]
	ds_write_b128 v101, v[29:32]
	v_perm_b32 v30, v106, v105, 0xc0c0105
	v_mad_u64_u32 v[26:27], null, s9, v113, s[4:5]
	v_perm_b32 v32, v104, v103, 0xc0c0206
	v_perm_b32 v109, v104, v103, 0xc0c0307
	v_lshl_or_b32 v103, v108, 16, v102
	v_perm_b32 v102, v106, v105, 0xc0c0206
	v_mad_u64_u32 v[27:28], null, s9, v114, s[4:5]
	v_mad_u64_u32 v[28:29], null, s9, v115, s[4:5]
	v_lshl_or_b32 v104, v30, 16, v107
	v_mad_u64_u32 v[29:30], null, s9, v116, s[4:5]
	v_perm_b32 v106, v106, v105, 0xc0c0307
	v_mad_u64_u32 v[30:31], null, s9, v117, s[4:5]
	v_lshl_or_b32 v105, v102, 16, v32
	v_mad_u64_u32 v[31:32], null, s9, v118, s[4:5]
	v_lshl_or_b32 v106, v106, 16, v109
	v_lshlrev_b32_e32 v32, 2, v94
	v_mov_b32_e32 v102, 0
	s_mov_b32 s9, s19
	ds_write_b128 v101, v[103:106] offset:512
.LBB2_1:                                ; =>This Inner Loop Header: Depth=1
	v_add_nc_u32_e32 v103, v100, v31
	v_add_nc_u32_e32 v104, v100, v30
	;; [unrolled: 1-line block ×7, first 2 shown]
	s_clause 0x6
	buffer_load_dword v115, v103, s[12:15], 0 offen
	buffer_load_dword v116, v104, s[12:15], 0 offen
	;; [unrolled: 1-line block ×7, first 2 shown]
	v_add_nc_u32_e32 v103, v100, v24
	v_add_nc_u32_e32 v104, v100, v10
	;; [unrolled: 1-line block ×5, first 2 shown]
	buffer_load_dword v114, v103, s[12:15], 0 offen
	v_add_nc_u32_e32 v103, v100, v15
	buffer_load_dword v104, v104, s[8:11], 0 offen
	v_add_nc_u32_e32 v8, s5, v8
	v_cmp_gt_i32_e32 vcc_lo, s3, v102
	v_add_nc_u32_e32 v9, s5, v9
	buffer_load_dword v107, v103, s[8:11], 0 offen
	v_add_nc_u32_e32 v103, v100, v14
	buffer_load_dword v105, v105, s[8:11], 0 offen
	v_add_nc_u32_e32 v10, s5, v10
	v_add_nc_u32_e32 v14, s5, v14
	;; [unrolled: 1-line block ×3, first 2 shown]
	buffer_load_dword v108, v103, s[8:11], 0 offen
	v_add_nc_u32_e32 v103, v100, v13
	buffer_load_dword v106, v106, s[8:11], 0 offen
	v_add_nc_u32_e32 v13, s5, v13
	v_add_nc_u32_e32 v24, s20, v24
	;; [unrolled: 1-line block ×3, first 2 shown]
	buffer_load_dword v109, v103, s[8:11], 0 offen
	v_add_nc_u32_e32 v103, v100, v12
	v_add_nc_u32_e32 v12, s5, v12
	;; [unrolled: 1-line block ×5, first 2 shown]
	buffer_load_dword v110, v103, s[8:11], 0 offen
	v_add_nc_u32_e32 v103, v100, v11
	v_add_nc_u32_e32 v11, s5, v11
	;; [unrolled: 1-line block ×5, first 2 shown]
	buffer_load_dword v103, v103, s[8:11], 0 offen
	s_waitcnt lgkmcnt(0)
	s_barrier
	ds_read_b128 v[119:122], v99
	ds_read_b128 v[123:126], v32 offset:16384
	ds_read_b128 v[127:130], v32 offset:16640
	;; [unrolled: 1-line block ×3, first 2 shown]
	s_and_b32 vcc_lo, exec_lo, vcc_lo
	s_waitcnt lgkmcnt(2)
	v_dot4c_i32_i8 v95, v119, v123
	v_dot4c_i32_i8 v97, v119, v124
	v_dot4c_i32_i8 v96, v119, v125
	v_dot4c_i32_i8 v92, v119, v126
	v_dot4c_i32_i8 v82, v120, v123
	v_dot4c_i32_i8 v86, v120, v124
	v_dot4c_i32_i8 v85, v120, v125
	v_dot4c_i32_i8 v81, v120, v126
	v_dot4c_i32_i8 v78, v121, v123
	v_dot4c_i32_i8 v80, v121, v124
	v_dot4c_i32_i8 v79, v121, v125
	v_dot4c_i32_i8 v77, v121, v126
	v_dot4c_i32_i8 v66, v122, v123
	v_dot4c_i32_i8 v69, v122, v124
	v_dot4c_i32_i8 v67, v122, v125
	v_dot4c_i32_i8 v65, v122, v126
	s_waitcnt lgkmcnt(1)
	v_dot4c_i32_i8 v90, v119, v127
	v_dot4c_i32_i8 v93, v119, v128
	v_dot4c_i32_i8 v91, v119, v129
	v_dot4c_i32_i8 v89, v119, v130
	v_dot4c_i32_i8 v84, v120, v127
	v_dot4c_i32_i8 v88, v120, v128
	v_dot4c_i32_i8 v87, v120, v129
	v_dot4c_i32_i8 v83, v120, v130
	v_dot4c_i32_i8 v74, v121, v127
	v_dot4c_i32_i8 v76, v121, v128
	v_dot4c_i32_i8 v75, v121, v129
	v_dot4c_i32_i8 v73, v121, v130
	v_dot4c_i32_i8 v70, v122, v127
	v_dot4c_i32_i8 v72, v122, v128
	v_dot4c_i32_i8 v71, v122, v129
	v_dot4c_i32_i8 v68, v122, v130
	s_waitcnt lgkmcnt(0)
	v_dot4c_i32_i8 v37, v131, v123
	v_dot4c_i32_i8 v40, v131, v124
	v_dot4c_i32_i8 v38, v131, v125
	v_dot4c_i32_i8 v35, v131, v126
	v_dot4c_i32_i8 v47, v132, v123
	v_dot4c_i32_i8 v50, v132, v124
	v_dot4c_i32_i8 v48, v132, v125
	v_dot4c_i32_i8 v45, v132, v126
	v_dot4c_i32_i8 v51, v133, v123
	v_dot4c_i32_i8 v55, v133, v124
	v_dot4c_i32_i8 v53, v133, v125
	v_dot4c_i32_i8 v49, v133, v126
	v_dot4c_i32_i8 v62, v134, v123
	v_dot4c_i32_i8 v64, v134, v124
	v_dot4c_i32_i8 v63, v134, v125
	v_dot4c_i32_i8 v61, v134, v126
	v_dot4c_i32_i8 v36, v131, v127
	v_dot4c_i32_i8 v43, v131, v128
	;; [unrolled: 1-line block ×16, first 2 shown]
	ds_read_b128 v[119:122], v99 offset:512
	ds_read_b128 v[123:126], v32 offset:16896
	;; [unrolled: 1-line block ×4, first 2 shown]
	s_waitcnt lgkmcnt(2)
	v_dot4c_i32_i8 v95, v119, v123
	v_dot4c_i32_i8 v97, v119, v124
	v_dot4c_i32_i8 v96, v119, v125
	v_dot4c_i32_i8 v92, v119, v126
	v_dot4c_i32_i8 v82, v120, v123
	v_dot4c_i32_i8 v86, v120, v124
	v_dot4c_i32_i8 v85, v120, v125
	v_dot4c_i32_i8 v81, v120, v126
	v_dot4c_i32_i8 v78, v121, v123
	v_dot4c_i32_i8 v80, v121, v124
	v_dot4c_i32_i8 v79, v121, v125
	v_dot4c_i32_i8 v77, v121, v126
	v_dot4c_i32_i8 v66, v122, v123
	v_dot4c_i32_i8 v69, v122, v124
	v_dot4c_i32_i8 v67, v122, v125
	v_dot4c_i32_i8 v65, v122, v126
	s_waitcnt lgkmcnt(1)
	v_dot4c_i32_i8 v90, v119, v127
	v_dot4c_i32_i8 v93, v119, v128
	v_dot4c_i32_i8 v91, v119, v129
	v_dot4c_i32_i8 v89, v119, v130
	v_dot4c_i32_i8 v84, v120, v127
	v_dot4c_i32_i8 v88, v120, v128
	v_dot4c_i32_i8 v87, v120, v129
	v_dot4c_i32_i8 v83, v120, v130
	v_dot4c_i32_i8 v74, v121, v127
	v_dot4c_i32_i8 v76, v121, v128
	v_dot4c_i32_i8 v75, v121, v129
	v_dot4c_i32_i8 v73, v121, v130
	v_dot4c_i32_i8 v70, v122, v127
	v_dot4c_i32_i8 v72, v122, v128
	v_dot4c_i32_i8 v71, v122, v129
	v_dot4c_i32_i8 v68, v122, v130
	;; [unrolled: 17-line block ×3, first 2 shown]
	v_dot4c_i32_i8 v36, v131, v127
	v_dot4c_i32_i8 v43, v131, v128
	;; [unrolled: 1-line block ×16, first 2 shown]
	ds_read_b128 v[119:122], v99 offset:1024
	ds_read_b128 v[123:126], v32 offset:17408
	;; [unrolled: 1-line block ×4, first 2 shown]
	s_waitcnt lgkmcnt(2)
	v_dot4c_i32_i8 v95, v119, v123
	v_dot4c_i32_i8 v97, v119, v124
	v_dot4c_i32_i8 v96, v119, v125
	v_dot4c_i32_i8 v92, v119, v126
	v_dot4c_i32_i8 v82, v120, v123
	v_dot4c_i32_i8 v86, v120, v124
	v_dot4c_i32_i8 v85, v120, v125
	v_dot4c_i32_i8 v81, v120, v126
	v_dot4c_i32_i8 v78, v121, v123
	v_dot4c_i32_i8 v80, v121, v124
	v_dot4c_i32_i8 v79, v121, v125
	v_dot4c_i32_i8 v77, v121, v126
	v_dot4c_i32_i8 v66, v122, v123
	v_dot4c_i32_i8 v69, v122, v124
	v_dot4c_i32_i8 v67, v122, v125
	v_dot4c_i32_i8 v65, v122, v126
	s_waitcnt lgkmcnt(1)
	v_dot4c_i32_i8 v90, v119, v127
	v_dot4c_i32_i8 v93, v119, v128
	v_dot4c_i32_i8 v91, v119, v129
	v_dot4c_i32_i8 v89, v119, v130
	v_dot4c_i32_i8 v84, v120, v127
	v_dot4c_i32_i8 v88, v120, v128
	v_dot4c_i32_i8 v87, v120, v129
	v_dot4c_i32_i8 v83, v120, v130
	v_dot4c_i32_i8 v74, v121, v127
	v_dot4c_i32_i8 v76, v121, v128
	v_dot4c_i32_i8 v75, v121, v129
	v_dot4c_i32_i8 v73, v121, v130
	v_dot4c_i32_i8 v70, v122, v127
	v_dot4c_i32_i8 v72, v122, v128
	v_dot4c_i32_i8 v71, v122, v129
	v_dot4c_i32_i8 v68, v122, v130
	;; [unrolled: 17-line block ×3, first 2 shown]
	v_dot4c_i32_i8 v36, v131, v127
	v_dot4c_i32_i8 v43, v131, v128
	;; [unrolled: 1-line block ×16, first 2 shown]
	ds_read_b128 v[119:122], v99 offset:1536
	ds_read_b128 v[123:126], v32 offset:17920
	;; [unrolled: 1-line block ×4, first 2 shown]
	s_waitcnt lgkmcnt(2)
	v_dot4c_i32_i8 v95, v119, v123
	v_dot4c_i32_i8 v97, v119, v124
	v_dot4c_i32_i8 v96, v119, v125
	v_dot4c_i32_i8 v92, v119, v126
	v_dot4c_i32_i8 v82, v120, v123
	v_dot4c_i32_i8 v86, v120, v124
	v_dot4c_i32_i8 v85, v120, v125
	v_dot4c_i32_i8 v81, v120, v126
	v_dot4c_i32_i8 v78, v121, v123
	v_dot4c_i32_i8 v80, v121, v124
	v_dot4c_i32_i8 v79, v121, v125
	v_dot4c_i32_i8 v77, v121, v126
	v_dot4c_i32_i8 v66, v122, v123
	v_dot4c_i32_i8 v69, v122, v124
	v_dot4c_i32_i8 v67, v122, v125
	v_dot4c_i32_i8 v65, v122, v126
	s_waitcnt lgkmcnt(1)
	v_dot4c_i32_i8 v90, v119, v127
	v_dot4c_i32_i8 v93, v119, v128
	v_dot4c_i32_i8 v91, v119, v129
	v_dot4c_i32_i8 v89, v119, v130
	v_dot4c_i32_i8 v84, v120, v127
	v_dot4c_i32_i8 v88, v120, v128
	v_dot4c_i32_i8 v87, v120, v129
	v_dot4c_i32_i8 v83, v120, v130
	v_dot4c_i32_i8 v74, v121, v127
	v_dot4c_i32_i8 v76, v121, v128
	v_dot4c_i32_i8 v75, v121, v129
	v_dot4c_i32_i8 v73, v121, v130
	v_dot4c_i32_i8 v70, v122, v127
	v_dot4c_i32_i8 v72, v122, v128
	v_dot4c_i32_i8 v71, v122, v129
	v_dot4c_i32_i8 v68, v122, v130
	s_waitcnt lgkmcnt(0)
	v_dot4c_i32_i8 v37, v131, v123
	v_dot4c_i32_i8 v40, v131, v124
	v_dot4c_i32_i8 v38, v131, v125
	v_dot4c_i32_i8 v35, v131, v126
	v_dot4c_i32_i8 v47, v132, v123
	v_dot4c_i32_i8 v50, v132, v124
	v_dot4c_i32_i8 v48, v132, v125
	v_dot4c_i32_i8 v45, v132, v126
	v_dot4c_i32_i8 v51, v133, v123
	v_dot4c_i32_i8 v55, v133, v124
	v_dot4c_i32_i8 v53, v133, v125
	v_dot4c_i32_i8 v49, v133, v126
	v_dot4c_i32_i8 v62, v134, v123
	v_dot4c_i32_i8 v64, v134, v124
	v_dot4c_i32_i8 v63, v134, v125
	v_dot4c_i32_i8 v61, v134, v126
	v_dot4c_i32_i8 v36, v131, v127
	v_dot4c_i32_i8 v43, v131, v128
	;; [unrolled: 1-line block ×16, first 2 shown]
	ds_read_b128 v[119:122], v99 offset:2048
	ds_read_b128 v[123:126], v32 offset:18432
	;; [unrolled: 1-line block ×4, first 2 shown]
	s_waitcnt lgkmcnt(2)
	v_dot4c_i32_i8 v95, v119, v123
	v_dot4c_i32_i8 v97, v119, v124
	v_dot4c_i32_i8 v96, v119, v125
	v_dot4c_i32_i8 v92, v119, v126
	v_dot4c_i32_i8 v82, v120, v123
	v_dot4c_i32_i8 v86, v120, v124
	v_dot4c_i32_i8 v85, v120, v125
	v_dot4c_i32_i8 v81, v120, v126
	v_dot4c_i32_i8 v78, v121, v123
	v_dot4c_i32_i8 v80, v121, v124
	v_dot4c_i32_i8 v79, v121, v125
	v_dot4c_i32_i8 v77, v121, v126
	v_dot4c_i32_i8 v66, v122, v123
	v_dot4c_i32_i8 v69, v122, v124
	v_dot4c_i32_i8 v67, v122, v125
	v_dot4c_i32_i8 v65, v122, v126
	s_waitcnt lgkmcnt(1)
	v_dot4c_i32_i8 v90, v119, v127
	v_dot4c_i32_i8 v93, v119, v128
	v_dot4c_i32_i8 v91, v119, v129
	v_dot4c_i32_i8 v89, v119, v130
	v_dot4c_i32_i8 v84, v120, v127
	v_dot4c_i32_i8 v88, v120, v128
	v_dot4c_i32_i8 v87, v120, v129
	v_dot4c_i32_i8 v83, v120, v130
	v_dot4c_i32_i8 v74, v121, v127
	v_dot4c_i32_i8 v76, v121, v128
	v_dot4c_i32_i8 v75, v121, v129
	v_dot4c_i32_i8 v73, v121, v130
	v_dot4c_i32_i8 v70, v122, v127
	v_dot4c_i32_i8 v72, v122, v128
	v_dot4c_i32_i8 v71, v122, v129
	v_dot4c_i32_i8 v68, v122, v130
	;; [unrolled: 17-line block ×3, first 2 shown]
	v_dot4c_i32_i8 v36, v131, v127
	v_dot4c_i32_i8 v43, v131, v128
	;; [unrolled: 1-line block ×16, first 2 shown]
	ds_read_b128 v[119:122], v99 offset:2560
	ds_read_b128 v[123:126], v32 offset:18944
	;; [unrolled: 1-line block ×4, first 2 shown]
	s_waitcnt lgkmcnt(2)
	v_dot4c_i32_i8 v95, v119, v123
	v_dot4c_i32_i8 v97, v119, v124
	v_dot4c_i32_i8 v96, v119, v125
	v_dot4c_i32_i8 v92, v119, v126
	v_dot4c_i32_i8 v82, v120, v123
	v_dot4c_i32_i8 v86, v120, v124
	v_dot4c_i32_i8 v85, v120, v125
	v_dot4c_i32_i8 v81, v120, v126
	v_dot4c_i32_i8 v78, v121, v123
	v_dot4c_i32_i8 v80, v121, v124
	v_dot4c_i32_i8 v79, v121, v125
	v_dot4c_i32_i8 v77, v121, v126
	v_dot4c_i32_i8 v66, v122, v123
	v_dot4c_i32_i8 v69, v122, v124
	v_dot4c_i32_i8 v67, v122, v125
	v_dot4c_i32_i8 v65, v122, v126
	s_waitcnt lgkmcnt(1)
	v_dot4c_i32_i8 v90, v119, v127
	v_dot4c_i32_i8 v93, v119, v128
	v_dot4c_i32_i8 v91, v119, v129
	v_dot4c_i32_i8 v89, v119, v130
	v_dot4c_i32_i8 v84, v120, v127
	v_dot4c_i32_i8 v88, v120, v128
	v_dot4c_i32_i8 v87, v120, v129
	v_dot4c_i32_i8 v83, v120, v130
	v_dot4c_i32_i8 v74, v121, v127
	v_dot4c_i32_i8 v76, v121, v128
	v_dot4c_i32_i8 v75, v121, v129
	v_dot4c_i32_i8 v73, v121, v130
	v_dot4c_i32_i8 v70, v122, v127
	v_dot4c_i32_i8 v72, v122, v128
	v_dot4c_i32_i8 v71, v122, v129
	v_dot4c_i32_i8 v68, v122, v130
	s_waitcnt lgkmcnt(0)
	v_dot4c_i32_i8 v37, v131, v123
	v_dot4c_i32_i8 v40, v131, v124
	v_dot4c_i32_i8 v38, v131, v125
	v_dot4c_i32_i8 v35, v131, v126
	v_dot4c_i32_i8 v47, v132, v123
	v_dot4c_i32_i8 v50, v132, v124
	v_dot4c_i32_i8 v48, v132, v125
	v_dot4c_i32_i8 v45, v132, v126
	v_dot4c_i32_i8 v51, v133, v123
	v_dot4c_i32_i8 v55, v133, v124
	v_dot4c_i32_i8 v53, v133, v125
	v_dot4c_i32_i8 v49, v133, v126
	v_dot4c_i32_i8 v62, v134, v123
	v_dot4c_i32_i8 v64, v134, v124
	v_dot4c_i32_i8 v63, v134, v125
	v_dot4c_i32_i8 v61, v134, v126
	v_dot4c_i32_i8 v36, v131, v127
	v_dot4c_i32_i8 v43, v131, v128
	;; [unrolled: 1-line block ×16, first 2 shown]
	ds_read_b128 v[119:122], v99 offset:3072
	ds_read_b128 v[123:126], v32 offset:19456
	ds_read_b128 v[127:130], v32 offset:19712
	ds_read_b128 v[131:134], v99 offset:3328
	s_waitcnt lgkmcnt(2)
	v_dot4c_i32_i8 v95, v119, v123
	v_dot4c_i32_i8 v97, v119, v124
	v_dot4c_i32_i8 v96, v119, v125
	v_dot4c_i32_i8 v92, v119, v126
	v_dot4c_i32_i8 v82, v120, v123
	v_dot4c_i32_i8 v86, v120, v124
	v_dot4c_i32_i8 v85, v120, v125
	v_dot4c_i32_i8 v81, v120, v126
	v_dot4c_i32_i8 v78, v121, v123
	v_dot4c_i32_i8 v80, v121, v124
	v_dot4c_i32_i8 v79, v121, v125
	v_dot4c_i32_i8 v77, v121, v126
	v_dot4c_i32_i8 v66, v122, v123
	v_dot4c_i32_i8 v69, v122, v124
	v_dot4c_i32_i8 v67, v122, v125
	v_dot4c_i32_i8 v65, v122, v126
	s_waitcnt lgkmcnt(1)
	v_dot4c_i32_i8 v90, v119, v127
	v_dot4c_i32_i8 v93, v119, v128
	v_dot4c_i32_i8 v91, v119, v129
	v_dot4c_i32_i8 v89, v119, v130
	v_dot4c_i32_i8 v84, v120, v127
	v_dot4c_i32_i8 v88, v120, v128
	v_dot4c_i32_i8 v87, v120, v129
	v_dot4c_i32_i8 v83, v120, v130
	v_dot4c_i32_i8 v74, v121, v127
	v_dot4c_i32_i8 v76, v121, v128
	v_dot4c_i32_i8 v75, v121, v129
	v_dot4c_i32_i8 v73, v121, v130
	v_dot4c_i32_i8 v70, v122, v127
	v_dot4c_i32_i8 v72, v122, v128
	v_dot4c_i32_i8 v71, v122, v129
	v_dot4c_i32_i8 v68, v122, v130
	;; [unrolled: 17-line block ×3, first 2 shown]
	v_dot4c_i32_i8 v36, v131, v127
	v_dot4c_i32_i8 v43, v131, v128
	;; [unrolled: 1-line block ×16, first 2 shown]
	ds_read_b128 v[119:122], v99 offset:3584
	ds_read_b128 v[123:126], v32 offset:19968
	;; [unrolled: 1-line block ×4, first 2 shown]
	s_waitcnt lgkmcnt(2)
	v_dot4c_i32_i8 v95, v119, v123
	v_dot4c_i32_i8 v97, v119, v124
	v_dot4c_i32_i8 v96, v119, v125
	v_dot4c_i32_i8 v92, v119, v126
	v_dot4c_i32_i8 v82, v120, v123
	v_dot4c_i32_i8 v86, v120, v124
	v_dot4c_i32_i8 v85, v120, v125
	v_dot4c_i32_i8 v81, v120, v126
	v_dot4c_i32_i8 v78, v121, v123
	v_dot4c_i32_i8 v80, v121, v124
	v_dot4c_i32_i8 v79, v121, v125
	v_dot4c_i32_i8 v77, v121, v126
	v_dot4c_i32_i8 v66, v122, v123
	v_dot4c_i32_i8 v69, v122, v124
	v_dot4c_i32_i8 v67, v122, v125
	v_dot4c_i32_i8 v65, v122, v126
	s_waitcnt lgkmcnt(1)
	v_dot4c_i32_i8 v90, v119, v127
	v_dot4c_i32_i8 v93, v119, v128
	v_dot4c_i32_i8 v91, v119, v129
	v_dot4c_i32_i8 v89, v119, v130
	v_dot4c_i32_i8 v84, v120, v127
	v_dot4c_i32_i8 v88, v120, v128
	v_dot4c_i32_i8 v87, v120, v129
	v_dot4c_i32_i8 v83, v120, v130
	v_dot4c_i32_i8 v74, v121, v127
	v_dot4c_i32_i8 v76, v121, v128
	v_dot4c_i32_i8 v75, v121, v129
	v_dot4c_i32_i8 v73, v121, v130
	v_dot4c_i32_i8 v70, v122, v127
	v_dot4c_i32_i8 v72, v122, v128
	v_dot4c_i32_i8 v71, v122, v129
	v_dot4c_i32_i8 v68, v122, v130
	;; [unrolled: 17-line block ×3, first 2 shown]
	v_dot4c_i32_i8 v36, v131, v127
	v_dot4c_i32_i8 v43, v131, v128
	v_dot4c_i32_i8 v41, v131, v129
	v_dot4c_i32_i8 v34, v131, v130
	v_dot4c_i32_i8 v42, v132, v127
	v_dot4c_i32_i8 v46, v132, v128
	v_dot4c_i32_i8 v44, v132, v129
	v_dot4c_i32_i8 v39, v132, v130
	v_dot4c_i32_i8 v56, v133, v127
	v_dot4c_i32_i8 v59, v133, v128
	v_dot4c_i32_i8 v57, v133, v129
	v_dot4c_i32_i8 v54, v133, v130
	v_dot4c_i32_i8 v52, v134, v127
	v_dot4c_i32_i8 v60, v134, v128
	v_dot4c_i32_i8 v58, v134, v129
	v_dot4c_i32_i8 v33, v134, v130
	ds_read_b128 v[119:122], v99 offset:4096
	ds_read_b128 v[123:126], v32 offset:20480
	ds_read_b128 v[127:130], v32 offset:20736
	ds_read_b128 v[131:134], v99 offset:4352
	s_waitcnt lgkmcnt(2)
	v_dot4c_i32_i8 v95, v119, v123
	v_dot4c_i32_i8 v97, v119, v124
	v_dot4c_i32_i8 v96, v119, v125
	v_dot4c_i32_i8 v92, v119, v126
	v_dot4c_i32_i8 v82, v120, v123
	v_dot4c_i32_i8 v86, v120, v124
	v_dot4c_i32_i8 v85, v120, v125
	v_dot4c_i32_i8 v81, v120, v126
	v_dot4c_i32_i8 v78, v121, v123
	v_dot4c_i32_i8 v80, v121, v124
	v_dot4c_i32_i8 v79, v121, v125
	v_dot4c_i32_i8 v77, v121, v126
	v_dot4c_i32_i8 v66, v122, v123
	v_dot4c_i32_i8 v69, v122, v124
	v_dot4c_i32_i8 v67, v122, v125
	v_dot4c_i32_i8 v65, v122, v126
	s_waitcnt lgkmcnt(1)
	v_dot4c_i32_i8 v90, v119, v127
	v_dot4c_i32_i8 v93, v119, v128
	v_dot4c_i32_i8 v91, v119, v129
	v_dot4c_i32_i8 v89, v119, v130
	v_dot4c_i32_i8 v84, v120, v127
	v_dot4c_i32_i8 v88, v120, v128
	v_dot4c_i32_i8 v87, v120, v129
	v_dot4c_i32_i8 v83, v120, v130
	v_dot4c_i32_i8 v74, v121, v127
	v_dot4c_i32_i8 v76, v121, v128
	v_dot4c_i32_i8 v75, v121, v129
	v_dot4c_i32_i8 v73, v121, v130
	v_dot4c_i32_i8 v70, v122, v127
	v_dot4c_i32_i8 v72, v122, v128
	v_dot4c_i32_i8 v71, v122, v129
	v_dot4c_i32_i8 v68, v122, v130
	;; [unrolled: 17-line block ×3, first 2 shown]
	v_dot4c_i32_i8 v36, v131, v127
	v_dot4c_i32_i8 v43, v131, v128
	;; [unrolled: 1-line block ×16, first 2 shown]
	ds_read_b128 v[119:122], v99 offset:4608
	ds_read_b128 v[123:126], v32 offset:20992
	;; [unrolled: 1-line block ×4, first 2 shown]
	s_waitcnt lgkmcnt(2)
	v_dot4c_i32_i8 v95, v119, v123
	v_dot4c_i32_i8 v97, v119, v124
	v_dot4c_i32_i8 v96, v119, v125
	v_dot4c_i32_i8 v92, v119, v126
	v_dot4c_i32_i8 v82, v120, v123
	v_dot4c_i32_i8 v86, v120, v124
	v_dot4c_i32_i8 v85, v120, v125
	v_dot4c_i32_i8 v81, v120, v126
	v_dot4c_i32_i8 v78, v121, v123
	v_dot4c_i32_i8 v80, v121, v124
	v_dot4c_i32_i8 v79, v121, v125
	v_dot4c_i32_i8 v77, v121, v126
	v_dot4c_i32_i8 v66, v122, v123
	v_dot4c_i32_i8 v69, v122, v124
	v_dot4c_i32_i8 v67, v122, v125
	v_dot4c_i32_i8 v65, v122, v126
	s_waitcnt lgkmcnt(1)
	v_dot4c_i32_i8 v90, v119, v127
	v_dot4c_i32_i8 v93, v119, v128
	v_dot4c_i32_i8 v91, v119, v129
	v_dot4c_i32_i8 v89, v119, v130
	v_dot4c_i32_i8 v84, v120, v127
	v_dot4c_i32_i8 v88, v120, v128
	v_dot4c_i32_i8 v87, v120, v129
	v_dot4c_i32_i8 v83, v120, v130
	v_dot4c_i32_i8 v74, v121, v127
	v_dot4c_i32_i8 v76, v121, v128
	v_dot4c_i32_i8 v75, v121, v129
	v_dot4c_i32_i8 v73, v121, v130
	v_dot4c_i32_i8 v70, v122, v127
	v_dot4c_i32_i8 v72, v122, v128
	v_dot4c_i32_i8 v71, v122, v129
	v_dot4c_i32_i8 v68, v122, v130
	;; [unrolled: 17-line block ×3, first 2 shown]
	v_dot4c_i32_i8 v36, v131, v127
	v_dot4c_i32_i8 v43, v131, v128
	;; [unrolled: 1-line block ×16, first 2 shown]
	ds_read_b128 v[119:122], v99 offset:5120
	ds_read_b128 v[123:126], v32 offset:21504
	;; [unrolled: 1-line block ×4, first 2 shown]
	s_waitcnt lgkmcnt(2)
	v_dot4c_i32_i8 v95, v119, v123
	v_dot4c_i32_i8 v97, v119, v124
	v_dot4c_i32_i8 v96, v119, v125
	v_dot4c_i32_i8 v92, v119, v126
	v_dot4c_i32_i8 v82, v120, v123
	v_dot4c_i32_i8 v86, v120, v124
	v_dot4c_i32_i8 v85, v120, v125
	v_dot4c_i32_i8 v81, v120, v126
	v_dot4c_i32_i8 v78, v121, v123
	v_dot4c_i32_i8 v80, v121, v124
	v_dot4c_i32_i8 v79, v121, v125
	v_dot4c_i32_i8 v77, v121, v126
	v_dot4c_i32_i8 v66, v122, v123
	v_dot4c_i32_i8 v69, v122, v124
	v_dot4c_i32_i8 v67, v122, v125
	v_dot4c_i32_i8 v65, v122, v126
	s_waitcnt lgkmcnt(1)
	v_dot4c_i32_i8 v90, v119, v127
	v_dot4c_i32_i8 v93, v119, v128
	v_dot4c_i32_i8 v91, v119, v129
	v_dot4c_i32_i8 v89, v119, v130
	v_dot4c_i32_i8 v84, v120, v127
	v_dot4c_i32_i8 v88, v120, v128
	v_dot4c_i32_i8 v87, v120, v129
	v_dot4c_i32_i8 v83, v120, v130
	v_dot4c_i32_i8 v74, v121, v127
	v_dot4c_i32_i8 v76, v121, v128
	v_dot4c_i32_i8 v75, v121, v129
	v_dot4c_i32_i8 v73, v121, v130
	v_dot4c_i32_i8 v70, v122, v127
	v_dot4c_i32_i8 v72, v122, v128
	v_dot4c_i32_i8 v71, v122, v129
	v_dot4c_i32_i8 v68, v122, v130
	s_waitcnt lgkmcnt(0)
	v_dot4c_i32_i8 v37, v131, v123
	v_dot4c_i32_i8 v40, v131, v124
	v_dot4c_i32_i8 v38, v131, v125
	v_dot4c_i32_i8 v35, v131, v126
	v_dot4c_i32_i8 v47, v132, v123
	v_dot4c_i32_i8 v50, v132, v124
	v_dot4c_i32_i8 v48, v132, v125
	v_dot4c_i32_i8 v45, v132, v126
	v_dot4c_i32_i8 v51, v133, v123
	v_dot4c_i32_i8 v55, v133, v124
	v_dot4c_i32_i8 v53, v133, v125
	v_dot4c_i32_i8 v49, v133, v126
	v_dot4c_i32_i8 v62, v134, v123
	v_dot4c_i32_i8 v64, v134, v124
	v_dot4c_i32_i8 v63, v134, v125
	v_dot4c_i32_i8 v61, v134, v126
	v_dot4c_i32_i8 v36, v131, v127
	v_dot4c_i32_i8 v43, v131, v128
	;; [unrolled: 1-line block ×16, first 2 shown]
	ds_read_b128 v[119:122], v99 offset:5632
	ds_read_b128 v[123:126], v32 offset:22016
	;; [unrolled: 1-line block ×4, first 2 shown]
	s_waitcnt lgkmcnt(2)
	v_dot4c_i32_i8 v95, v119, v123
	v_dot4c_i32_i8 v97, v119, v124
	v_dot4c_i32_i8 v96, v119, v125
	v_dot4c_i32_i8 v92, v119, v126
	v_dot4c_i32_i8 v82, v120, v123
	v_dot4c_i32_i8 v86, v120, v124
	v_dot4c_i32_i8 v85, v120, v125
	v_dot4c_i32_i8 v81, v120, v126
	v_dot4c_i32_i8 v78, v121, v123
	v_dot4c_i32_i8 v80, v121, v124
	v_dot4c_i32_i8 v79, v121, v125
	v_dot4c_i32_i8 v77, v121, v126
	v_dot4c_i32_i8 v66, v122, v123
	v_dot4c_i32_i8 v69, v122, v124
	v_dot4c_i32_i8 v67, v122, v125
	v_dot4c_i32_i8 v65, v122, v126
	s_waitcnt lgkmcnt(1)
	v_dot4c_i32_i8 v90, v119, v127
	v_dot4c_i32_i8 v93, v119, v128
	v_dot4c_i32_i8 v91, v119, v129
	v_dot4c_i32_i8 v89, v119, v130
	v_dot4c_i32_i8 v84, v120, v127
	v_dot4c_i32_i8 v88, v120, v128
	v_dot4c_i32_i8 v87, v120, v129
	v_dot4c_i32_i8 v83, v120, v130
	v_dot4c_i32_i8 v74, v121, v127
	v_dot4c_i32_i8 v76, v121, v128
	v_dot4c_i32_i8 v75, v121, v129
	v_dot4c_i32_i8 v73, v121, v130
	v_dot4c_i32_i8 v70, v122, v127
	v_dot4c_i32_i8 v72, v122, v128
	v_dot4c_i32_i8 v71, v122, v129
	v_dot4c_i32_i8 v68, v122, v130
	s_waitcnt lgkmcnt(0)
	v_dot4c_i32_i8 v37, v131, v123
	v_dot4c_i32_i8 v40, v131, v124
	v_dot4c_i32_i8 v38, v131, v125
	v_dot4c_i32_i8 v35, v131, v126
	v_dot4c_i32_i8 v47, v132, v123
	v_dot4c_i32_i8 v50, v132, v124
	v_dot4c_i32_i8 v48, v132, v125
	v_dot4c_i32_i8 v45, v132, v126
	v_dot4c_i32_i8 v51, v133, v123
	v_dot4c_i32_i8 v55, v133, v124
	v_dot4c_i32_i8 v53, v133, v125
	v_dot4c_i32_i8 v49, v133, v126
	v_dot4c_i32_i8 v62, v134, v123
	v_dot4c_i32_i8 v64, v134, v124
	v_dot4c_i32_i8 v63, v134, v125
	v_dot4c_i32_i8 v61, v134, v126
	v_dot4c_i32_i8 v36, v131, v127
	v_dot4c_i32_i8 v43, v131, v128
	;; [unrolled: 1-line block ×16, first 2 shown]
	ds_read_b128 v[119:122], v99 offset:6144
	ds_read_b128 v[123:126], v32 offset:22528
	ds_read_b128 v[127:130], v32 offset:22784
	ds_read_b128 v[131:134], v99 offset:6400
	s_waitcnt lgkmcnt(2)
	v_dot4c_i32_i8 v95, v119, v123
	v_dot4c_i32_i8 v97, v119, v124
	v_dot4c_i32_i8 v96, v119, v125
	v_dot4c_i32_i8 v92, v119, v126
	v_dot4c_i32_i8 v82, v120, v123
	v_dot4c_i32_i8 v86, v120, v124
	v_dot4c_i32_i8 v85, v120, v125
	v_dot4c_i32_i8 v81, v120, v126
	v_dot4c_i32_i8 v78, v121, v123
	v_dot4c_i32_i8 v80, v121, v124
	v_dot4c_i32_i8 v79, v121, v125
	v_dot4c_i32_i8 v77, v121, v126
	v_dot4c_i32_i8 v66, v122, v123
	v_dot4c_i32_i8 v69, v122, v124
	v_dot4c_i32_i8 v67, v122, v125
	v_dot4c_i32_i8 v65, v122, v126
	s_waitcnt lgkmcnt(1)
	v_dot4c_i32_i8 v90, v119, v127
	v_dot4c_i32_i8 v93, v119, v128
	v_dot4c_i32_i8 v91, v119, v129
	v_dot4c_i32_i8 v89, v119, v130
	v_dot4c_i32_i8 v84, v120, v127
	v_dot4c_i32_i8 v88, v120, v128
	v_dot4c_i32_i8 v87, v120, v129
	v_dot4c_i32_i8 v83, v120, v130
	v_dot4c_i32_i8 v74, v121, v127
	v_dot4c_i32_i8 v76, v121, v128
	v_dot4c_i32_i8 v75, v121, v129
	v_dot4c_i32_i8 v73, v121, v130
	v_dot4c_i32_i8 v70, v122, v127
	v_dot4c_i32_i8 v72, v122, v128
	v_dot4c_i32_i8 v71, v122, v129
	v_dot4c_i32_i8 v68, v122, v130
	;; [unrolled: 17-line block ×3, first 2 shown]
	v_dot4c_i32_i8 v36, v131, v127
	v_dot4c_i32_i8 v43, v131, v128
	;; [unrolled: 1-line block ×16, first 2 shown]
	ds_read_b128 v[119:122], v99 offset:6656
	ds_read_b128 v[123:126], v32 offset:23040
	;; [unrolled: 1-line block ×4, first 2 shown]
	s_waitcnt lgkmcnt(2)
	v_dot4c_i32_i8 v95, v119, v123
	v_dot4c_i32_i8 v97, v119, v124
	v_dot4c_i32_i8 v96, v119, v125
	v_dot4c_i32_i8 v92, v119, v126
	v_dot4c_i32_i8 v82, v120, v123
	v_dot4c_i32_i8 v86, v120, v124
	v_dot4c_i32_i8 v85, v120, v125
	v_dot4c_i32_i8 v81, v120, v126
	v_dot4c_i32_i8 v78, v121, v123
	v_dot4c_i32_i8 v80, v121, v124
	v_dot4c_i32_i8 v79, v121, v125
	v_dot4c_i32_i8 v77, v121, v126
	v_dot4c_i32_i8 v66, v122, v123
	v_dot4c_i32_i8 v69, v122, v124
	v_dot4c_i32_i8 v67, v122, v125
	v_dot4c_i32_i8 v65, v122, v126
	s_waitcnt lgkmcnt(1)
	v_dot4c_i32_i8 v90, v119, v127
	v_dot4c_i32_i8 v93, v119, v128
	v_dot4c_i32_i8 v91, v119, v129
	v_dot4c_i32_i8 v89, v119, v130
	v_dot4c_i32_i8 v84, v120, v127
	v_dot4c_i32_i8 v88, v120, v128
	v_dot4c_i32_i8 v87, v120, v129
	v_dot4c_i32_i8 v83, v120, v130
	v_dot4c_i32_i8 v74, v121, v127
	v_dot4c_i32_i8 v76, v121, v128
	v_dot4c_i32_i8 v75, v121, v129
	v_dot4c_i32_i8 v73, v121, v130
	v_dot4c_i32_i8 v70, v122, v127
	v_dot4c_i32_i8 v72, v122, v128
	v_dot4c_i32_i8 v71, v122, v129
	v_dot4c_i32_i8 v68, v122, v130
	;; [unrolled: 17-line block ×3, first 2 shown]
	v_dot4c_i32_i8 v36, v131, v127
	v_dot4c_i32_i8 v43, v131, v128
	;; [unrolled: 1-line block ×16, first 2 shown]
	ds_read_b128 v[119:122], v99 offset:7168
	ds_read_b128 v[123:126], v32 offset:23552
	;; [unrolled: 1-line block ×4, first 2 shown]
	s_waitcnt lgkmcnt(2)
	v_dot4c_i32_i8 v95, v119, v123
	v_dot4c_i32_i8 v97, v119, v124
	v_dot4c_i32_i8 v96, v119, v125
	v_dot4c_i32_i8 v92, v119, v126
	v_dot4c_i32_i8 v82, v120, v123
	v_dot4c_i32_i8 v86, v120, v124
	v_dot4c_i32_i8 v85, v120, v125
	v_dot4c_i32_i8 v81, v120, v126
	v_dot4c_i32_i8 v78, v121, v123
	v_dot4c_i32_i8 v80, v121, v124
	v_dot4c_i32_i8 v79, v121, v125
	v_dot4c_i32_i8 v77, v121, v126
	v_dot4c_i32_i8 v66, v122, v123
	v_dot4c_i32_i8 v69, v122, v124
	v_dot4c_i32_i8 v67, v122, v125
	v_dot4c_i32_i8 v65, v122, v126
	s_waitcnt lgkmcnt(1)
	v_dot4c_i32_i8 v90, v119, v127
	v_dot4c_i32_i8 v93, v119, v128
	v_dot4c_i32_i8 v91, v119, v129
	v_dot4c_i32_i8 v89, v119, v130
	v_dot4c_i32_i8 v84, v120, v127
	v_dot4c_i32_i8 v88, v120, v128
	v_dot4c_i32_i8 v87, v120, v129
	v_dot4c_i32_i8 v83, v120, v130
	v_dot4c_i32_i8 v74, v121, v127
	v_dot4c_i32_i8 v76, v121, v128
	v_dot4c_i32_i8 v75, v121, v129
	v_dot4c_i32_i8 v73, v121, v130
	v_dot4c_i32_i8 v70, v122, v127
	v_dot4c_i32_i8 v72, v122, v128
	v_dot4c_i32_i8 v71, v122, v129
	v_dot4c_i32_i8 v68, v122, v130
	s_waitcnt lgkmcnt(0)
	v_dot4c_i32_i8 v37, v131, v123
	v_dot4c_i32_i8 v40, v131, v124
	v_dot4c_i32_i8 v38, v131, v125
	v_dot4c_i32_i8 v35, v131, v126
	v_dot4c_i32_i8 v47, v132, v123
	v_dot4c_i32_i8 v50, v132, v124
	v_dot4c_i32_i8 v48, v132, v125
	v_dot4c_i32_i8 v45, v132, v126
	v_dot4c_i32_i8 v51, v133, v123
	v_dot4c_i32_i8 v55, v133, v124
	v_dot4c_i32_i8 v53, v133, v125
	v_dot4c_i32_i8 v49, v133, v126
	v_dot4c_i32_i8 v62, v134, v123
	v_dot4c_i32_i8 v64, v134, v124
	v_dot4c_i32_i8 v63, v134, v125
	v_dot4c_i32_i8 v61, v134, v126
	v_dot4c_i32_i8 v36, v131, v127
	v_dot4c_i32_i8 v43, v131, v128
	;; [unrolled: 1-line block ×16, first 2 shown]
	ds_read_b128 v[119:122], v99 offset:7680
	ds_read_b128 v[123:126], v32 offset:24064
	;; [unrolled: 1-line block ×4, first 2 shown]
	s_waitcnt lgkmcnt(2)
	v_dot4c_i32_i8 v95, v119, v123
	v_dot4c_i32_i8 v97, v119, v124
	;; [unrolled: 1-line block ×16, first 2 shown]
	s_waitcnt lgkmcnt(1)
	v_dot4c_i32_i8 v90, v119, v127
	v_dot4c_i32_i8 v93, v119, v128
	v_dot4c_i32_i8 v91, v119, v129
	v_dot4c_i32_i8 v89, v119, v130
	v_dot4c_i32_i8 v84, v120, v127
	v_dot4c_i32_i8 v88, v120, v128
	v_dot4c_i32_i8 v87, v120, v129
	v_dot4c_i32_i8 v83, v120, v130
	v_dot4c_i32_i8 v74, v121, v127
	v_dot4c_i32_i8 v76, v121, v128
	v_dot4c_i32_i8 v75, v121, v129
	v_dot4c_i32_i8 v73, v121, v130
	v_dot4c_i32_i8 v70, v122, v127
	v_dot4c_i32_i8 v72, v122, v128
	v_dot4c_i32_i8 v71, v122, v129
	v_dot4c_i32_i8 v68, v122, v130
	s_waitcnt vmcnt(14)
	v_perm_b32 v119, v115, v116, 0xc0c0004
	s_waitcnt vmcnt(12)
	v_perm_b32 v120, v117, v118, 0xc0c0004
	v_perm_b32 v121, v115, v116, 0xc0c0105
	v_perm_b32 v122, v117, v118, 0xc0c0105
	s_waitcnt lgkmcnt(0)
	v_dot4c_i32_i8 v37, v131, v123
	v_dot4c_i32_i8 v40, v131, v124
	v_lshl_or_b32 v119, v120, 16, v119
	v_dot4c_i32_i8 v38, v131, v125
	v_lshl_or_b32 v120, v122, 16, v121
	v_perm_b32 v121, v115, v116, 0xc0c0206
	v_perm_b32 v122, v117, v118, 0xc0c0206
	v_perm_b32 v115, v115, v116, 0xc0c0307
	v_perm_b32 v116, v117, v118, 0xc0c0307
	s_waitcnt vmcnt(8)
	v_perm_b32 v117, v114, v113, 0xc0c0105
	v_perm_b32 v118, v112, v111, 0xc0c0105
	v_lshl_or_b32 v121, v122, 16, v121
	v_dot4c_i32_i8 v35, v131, v126
	v_lshl_or_b32 v122, v116, 16, v115
	v_perm_b32 v115, v114, v113, 0xc0c0004
	v_perm_b32 v116, v112, v111, 0xc0c0004
	v_dot4c_i32_i8 v47, v132, v123
	v_dot4c_i32_i8 v50, v132, v124
	ds_write_b128 v101, v[119:122] offset:8192
	v_dot4c_i32_i8 v48, v132, v125
	v_lshl_or_b32 v115, v116, 16, v115
	v_lshl_or_b32 v116, v118, 16, v117
	v_perm_b32 v117, v114, v113, 0xc0c0206
	v_perm_b32 v118, v112, v111, 0xc0c0206
	;; [unrolled: 1-line block ×4, first 2 shown]
	s_waitcnt vmcnt(1)
	v_perm_b32 v112, v109, v110, 0xc0c0004
	v_perm_b32 v114, v109, v110, 0xc0c0105
	v_lshl_or_b32 v117, v118, 16, v117
	v_dot4c_i32_i8 v45, v132, v126
	v_lshl_or_b32 v118, v111, 16, v113
	v_perm_b32 v111, v107, v108, 0xc0c0004
	v_perm_b32 v113, v107, v108, 0xc0c0105
	v_dot4c_i32_i8 v51, v133, v123
	v_dot4c_i32_i8 v55, v133, v124
	ds_write_b128 v101, v[115:118] offset:8704
	v_lshl_or_b32 v111, v112, 16, v111
	v_lshl_or_b32 v112, v114, 16, v113
	v_perm_b32 v113, v107, v108, 0xc0c0206
	v_perm_b32 v114, v109, v110, 0xc0c0206
	;; [unrolled: 1-line block ×5, first 2 shown]
	s_waitcnt vmcnt(0)
	v_perm_b32 v110, v104, v103, 0xc0c0105
	v_lshl_or_b32 v113, v114, 16, v113
	v_dot4c_i32_i8 v53, v133, v125
	v_lshl_or_b32 v114, v108, 16, v107
	v_perm_b32 v107, v106, v105, 0xc0c0004
	v_perm_b32 v108, v104, v103, 0xc0c0004
	v_dot4c_i32_i8 v49, v133, v126
	v_dot4c_i32_i8 v62, v134, v123
	ds_write_b128 v101, v[111:114] offset:24576
	v_dot4c_i32_i8 v64, v134, v124
	v_lshl_or_b32 v107, v108, 16, v107
	v_lshl_or_b32 v108, v110, 16, v109
	v_perm_b32 v109, v106, v105, 0xc0c0206
	v_perm_b32 v110, v104, v103, 0xc0c0206
	;; [unrolled: 1-line block ×4, first 2 shown]
	v_add_nc_u32_e32 v104, v100, v23
	v_add_nc_u32_e32 v106, v100, v20
	v_lshl_or_b32 v109, v110, 16, v109
	v_dot4c_i32_i8 v63, v134, v125
	v_lshl_or_b32 v110, v103, 16, v105
	v_add_nc_u32_e32 v103, v100, v22
	v_add_nc_u32_e32 v105, v100, v21
	v_dot4c_i32_i8 v61, v134, v126
	v_dot4c_i32_i8 v36, v131, v127
	ds_write_b128 v101, v[107:110] offset:25088
	v_add_nc_u32_e32 v107, v100, v19
	v_add_nc_u32_e32 v108, v100, v18
	;; [unrolled: 1-line block ×3, first 2 shown]
	s_clause 0x6
	buffer_load_dword v115, v104, s[12:15], 0 offen
	buffer_load_dword v116, v103, s[12:15], 0 offen
	buffer_load_dword v117, v105, s[12:15], 0 offen
	buffer_load_dword v118, v106, s[12:15], 0 offen
	buffer_load_dword v111, v107, s[12:15], 0 offen
	buffer_load_dword v112, v108, s[12:15], 0 offen
	buffer_load_dword v113, v109, s[12:15], 0 offen
	v_add_nc_u32_e32 v103, v100, v16
	v_add_nc_u32_e32 v104, v100, v2
	;; [unrolled: 1-line block ×4, first 2 shown]
	v_dot4c_i32_i8 v43, v131, v128
	buffer_load_dword v114, v103, s[12:15], 0 offen
	v_add_nc_u32_e32 v103, v100, v7
	s_clause 0x2
	buffer_load_dword v104, v104, s[8:11], 0 offen
	buffer_load_dword v105, v105, s[8:11], 0 offen
	;; [unrolled: 1-line block ×3, first 2 shown]
	v_dot4c_i32_i8 v41, v131, v129
	buffer_load_dword v107, v103, s[8:11], 0 offen
	v_add_nc_u32_e32 v103, v100, v6
	v_dot4c_i32_i8 v34, v131, v130
	v_dot4c_i32_i8 v42, v132, v127
	v_dot4c_i32_i8 v46, v132, v128
	v_dot4c_i32_i8 v44, v132, v129
	buffer_load_dword v108, v103, s[8:11], 0 offen
	v_add_nc_u32_e32 v103, v100, v5
	v_dot4c_i32_i8 v39, v132, v130
	v_dot4c_i32_i8 v56, v133, v127
	v_dot4c_i32_i8 v59, v133, v128
	;; [unrolled: 6-line block ×3, first 2 shown]
	v_dot4c_i32_i8 v58, v134, v129
	buffer_load_dword v110, v103, s[8:11], 0 offen
	v_add_nc_u32_e32 v103, v100, v3
	v_dot4c_i32_i8 v33, v134, v130
	v_add_nc_u32_e32 v0, s5, v0
	v_add_nc_u32_e32 v1, s5, v1
	;; [unrolled: 1-line block ×3, first 2 shown]
	buffer_load_dword v103, v103, s[8:11], 0 offen
	s_waitcnt lgkmcnt(0)
	s_barrier
	ds_read_b128 v[119:122], v99 offset:8192
	ds_read_b128 v[123:126], v32 offset:24576
	;; [unrolled: 1-line block ×4, first 2 shown]
	v_add_nc_u32_e32 v3, s5, v3
	v_add_nc_u32_e32 v4, s5, v4
	;; [unrolled: 1-line block ×13, first 2 shown]
	s_waitcnt lgkmcnt(2)
	v_dot4c_i32_i8 v95, v119, v123
	v_dot4c_i32_i8 v97, v119, v124
	v_dot4c_i32_i8 v96, v119, v125
	v_dot4c_i32_i8 v92, v119, v126
	v_dot4c_i32_i8 v82, v120, v123
	v_dot4c_i32_i8 v86, v120, v124
	v_dot4c_i32_i8 v85, v120, v125
	v_dot4c_i32_i8 v81, v120, v126
	v_dot4c_i32_i8 v78, v121, v123
	v_dot4c_i32_i8 v80, v121, v124
	v_dot4c_i32_i8 v79, v121, v125
	v_dot4c_i32_i8 v77, v121, v126
	v_dot4c_i32_i8 v66, v122, v123
	v_dot4c_i32_i8 v69, v122, v124
	v_dot4c_i32_i8 v67, v122, v125
	v_dot4c_i32_i8 v65, v122, v126
	s_waitcnt lgkmcnt(1)
	v_dot4c_i32_i8 v90, v119, v127
	v_dot4c_i32_i8 v93, v119, v128
	v_dot4c_i32_i8 v91, v119, v129
	v_dot4c_i32_i8 v89, v119, v130
	v_dot4c_i32_i8 v84, v120, v127
	v_dot4c_i32_i8 v88, v120, v128
	v_dot4c_i32_i8 v87, v120, v129
	v_dot4c_i32_i8 v83, v120, v130
	v_dot4c_i32_i8 v74, v121, v127
	v_dot4c_i32_i8 v76, v121, v128
	v_dot4c_i32_i8 v75, v121, v129
	v_dot4c_i32_i8 v73, v121, v130
	v_dot4c_i32_i8 v70, v122, v127
	v_dot4c_i32_i8 v72, v122, v128
	v_dot4c_i32_i8 v71, v122, v129
	v_dot4c_i32_i8 v68, v122, v130
	;; [unrolled: 17-line block ×3, first 2 shown]
	v_dot4c_i32_i8 v36, v131, v127
	v_dot4c_i32_i8 v43, v131, v128
	;; [unrolled: 1-line block ×16, first 2 shown]
	ds_read_b128 v[119:122], v99 offset:8704
	ds_read_b128 v[123:126], v32 offset:25088
	;; [unrolled: 1-line block ×4, first 2 shown]
	s_waitcnt lgkmcnt(2)
	v_dot4c_i32_i8 v95, v119, v123
	v_dot4c_i32_i8 v97, v119, v124
	v_dot4c_i32_i8 v96, v119, v125
	v_dot4c_i32_i8 v92, v119, v126
	v_dot4c_i32_i8 v82, v120, v123
	v_dot4c_i32_i8 v86, v120, v124
	v_dot4c_i32_i8 v85, v120, v125
	v_dot4c_i32_i8 v81, v120, v126
	v_dot4c_i32_i8 v78, v121, v123
	v_dot4c_i32_i8 v80, v121, v124
	v_dot4c_i32_i8 v79, v121, v125
	v_dot4c_i32_i8 v77, v121, v126
	v_dot4c_i32_i8 v66, v122, v123
	v_dot4c_i32_i8 v69, v122, v124
	v_dot4c_i32_i8 v67, v122, v125
	v_dot4c_i32_i8 v65, v122, v126
	s_waitcnt lgkmcnt(1)
	v_dot4c_i32_i8 v90, v119, v127
	v_dot4c_i32_i8 v93, v119, v128
	v_dot4c_i32_i8 v91, v119, v129
	v_dot4c_i32_i8 v89, v119, v130
	v_dot4c_i32_i8 v84, v120, v127
	v_dot4c_i32_i8 v88, v120, v128
	v_dot4c_i32_i8 v87, v120, v129
	v_dot4c_i32_i8 v83, v120, v130
	v_dot4c_i32_i8 v74, v121, v127
	v_dot4c_i32_i8 v76, v121, v128
	v_dot4c_i32_i8 v75, v121, v129
	v_dot4c_i32_i8 v73, v121, v130
	v_dot4c_i32_i8 v70, v122, v127
	v_dot4c_i32_i8 v72, v122, v128
	v_dot4c_i32_i8 v71, v122, v129
	v_dot4c_i32_i8 v68, v122, v130
	;; [unrolled: 17-line block ×3, first 2 shown]
	v_dot4c_i32_i8 v36, v131, v127
	v_dot4c_i32_i8 v43, v131, v128
	;; [unrolled: 1-line block ×16, first 2 shown]
	ds_read_b128 v[119:122], v99 offset:9216
	ds_read_b128 v[123:126], v32 offset:25600
	;; [unrolled: 1-line block ×4, first 2 shown]
	s_waitcnt lgkmcnt(2)
	v_dot4c_i32_i8 v95, v119, v123
	v_dot4c_i32_i8 v97, v119, v124
	v_dot4c_i32_i8 v96, v119, v125
	v_dot4c_i32_i8 v92, v119, v126
	v_dot4c_i32_i8 v82, v120, v123
	v_dot4c_i32_i8 v86, v120, v124
	v_dot4c_i32_i8 v85, v120, v125
	v_dot4c_i32_i8 v81, v120, v126
	v_dot4c_i32_i8 v78, v121, v123
	v_dot4c_i32_i8 v80, v121, v124
	v_dot4c_i32_i8 v79, v121, v125
	v_dot4c_i32_i8 v77, v121, v126
	v_dot4c_i32_i8 v66, v122, v123
	v_dot4c_i32_i8 v69, v122, v124
	v_dot4c_i32_i8 v67, v122, v125
	v_dot4c_i32_i8 v65, v122, v126
	s_waitcnt lgkmcnt(1)
	v_dot4c_i32_i8 v90, v119, v127
	v_dot4c_i32_i8 v93, v119, v128
	v_dot4c_i32_i8 v91, v119, v129
	v_dot4c_i32_i8 v89, v119, v130
	v_dot4c_i32_i8 v84, v120, v127
	v_dot4c_i32_i8 v88, v120, v128
	v_dot4c_i32_i8 v87, v120, v129
	v_dot4c_i32_i8 v83, v120, v130
	v_dot4c_i32_i8 v74, v121, v127
	v_dot4c_i32_i8 v76, v121, v128
	v_dot4c_i32_i8 v75, v121, v129
	v_dot4c_i32_i8 v73, v121, v130
	v_dot4c_i32_i8 v70, v122, v127
	v_dot4c_i32_i8 v72, v122, v128
	v_dot4c_i32_i8 v71, v122, v129
	v_dot4c_i32_i8 v68, v122, v130
	;; [unrolled: 17-line block ×3, first 2 shown]
	v_dot4c_i32_i8 v36, v131, v127
	v_dot4c_i32_i8 v43, v131, v128
	;; [unrolled: 1-line block ×16, first 2 shown]
	ds_read_b128 v[119:122], v99 offset:9728
	ds_read_b128 v[123:126], v32 offset:26112
	;; [unrolled: 1-line block ×4, first 2 shown]
	s_waitcnt lgkmcnt(2)
	v_dot4c_i32_i8 v95, v119, v123
	v_dot4c_i32_i8 v97, v119, v124
	v_dot4c_i32_i8 v96, v119, v125
	v_dot4c_i32_i8 v92, v119, v126
	v_dot4c_i32_i8 v82, v120, v123
	v_dot4c_i32_i8 v86, v120, v124
	v_dot4c_i32_i8 v85, v120, v125
	v_dot4c_i32_i8 v81, v120, v126
	v_dot4c_i32_i8 v78, v121, v123
	v_dot4c_i32_i8 v80, v121, v124
	v_dot4c_i32_i8 v79, v121, v125
	v_dot4c_i32_i8 v77, v121, v126
	v_dot4c_i32_i8 v66, v122, v123
	v_dot4c_i32_i8 v69, v122, v124
	v_dot4c_i32_i8 v67, v122, v125
	v_dot4c_i32_i8 v65, v122, v126
	s_waitcnt lgkmcnt(1)
	v_dot4c_i32_i8 v90, v119, v127
	v_dot4c_i32_i8 v93, v119, v128
	v_dot4c_i32_i8 v91, v119, v129
	v_dot4c_i32_i8 v89, v119, v130
	v_dot4c_i32_i8 v84, v120, v127
	v_dot4c_i32_i8 v88, v120, v128
	v_dot4c_i32_i8 v87, v120, v129
	v_dot4c_i32_i8 v83, v120, v130
	v_dot4c_i32_i8 v74, v121, v127
	v_dot4c_i32_i8 v76, v121, v128
	v_dot4c_i32_i8 v75, v121, v129
	v_dot4c_i32_i8 v73, v121, v130
	v_dot4c_i32_i8 v70, v122, v127
	v_dot4c_i32_i8 v72, v122, v128
	v_dot4c_i32_i8 v71, v122, v129
	v_dot4c_i32_i8 v68, v122, v130
	;; [unrolled: 17-line block ×3, first 2 shown]
	v_dot4c_i32_i8 v36, v131, v127
	v_dot4c_i32_i8 v43, v131, v128
	;; [unrolled: 1-line block ×16, first 2 shown]
	ds_read_b128 v[119:122], v99 offset:10240
	ds_read_b128 v[123:126], v32 offset:26624
	ds_read_b128 v[127:130], v32 offset:26880
	ds_read_b128 v[131:134], v99 offset:10496
	s_waitcnt lgkmcnt(2)
	v_dot4c_i32_i8 v95, v119, v123
	v_dot4c_i32_i8 v97, v119, v124
	v_dot4c_i32_i8 v96, v119, v125
	v_dot4c_i32_i8 v92, v119, v126
	v_dot4c_i32_i8 v82, v120, v123
	v_dot4c_i32_i8 v86, v120, v124
	v_dot4c_i32_i8 v85, v120, v125
	v_dot4c_i32_i8 v81, v120, v126
	v_dot4c_i32_i8 v78, v121, v123
	v_dot4c_i32_i8 v80, v121, v124
	v_dot4c_i32_i8 v79, v121, v125
	v_dot4c_i32_i8 v77, v121, v126
	v_dot4c_i32_i8 v66, v122, v123
	v_dot4c_i32_i8 v69, v122, v124
	v_dot4c_i32_i8 v67, v122, v125
	v_dot4c_i32_i8 v65, v122, v126
	s_waitcnt lgkmcnt(1)
	v_dot4c_i32_i8 v90, v119, v127
	v_dot4c_i32_i8 v93, v119, v128
	v_dot4c_i32_i8 v91, v119, v129
	v_dot4c_i32_i8 v89, v119, v130
	v_dot4c_i32_i8 v84, v120, v127
	v_dot4c_i32_i8 v88, v120, v128
	v_dot4c_i32_i8 v87, v120, v129
	v_dot4c_i32_i8 v83, v120, v130
	v_dot4c_i32_i8 v74, v121, v127
	v_dot4c_i32_i8 v76, v121, v128
	v_dot4c_i32_i8 v75, v121, v129
	v_dot4c_i32_i8 v73, v121, v130
	v_dot4c_i32_i8 v70, v122, v127
	v_dot4c_i32_i8 v72, v122, v128
	v_dot4c_i32_i8 v71, v122, v129
	v_dot4c_i32_i8 v68, v122, v130
	;; [unrolled: 17-line block ×3, first 2 shown]
	v_dot4c_i32_i8 v36, v131, v127
	v_dot4c_i32_i8 v43, v131, v128
	;; [unrolled: 1-line block ×16, first 2 shown]
	ds_read_b128 v[119:122], v99 offset:10752
	ds_read_b128 v[123:126], v32 offset:27136
	;; [unrolled: 1-line block ×4, first 2 shown]
	s_waitcnt lgkmcnt(2)
	v_dot4c_i32_i8 v95, v119, v123
	v_dot4c_i32_i8 v97, v119, v124
	v_dot4c_i32_i8 v96, v119, v125
	v_dot4c_i32_i8 v92, v119, v126
	v_dot4c_i32_i8 v82, v120, v123
	v_dot4c_i32_i8 v86, v120, v124
	v_dot4c_i32_i8 v85, v120, v125
	v_dot4c_i32_i8 v81, v120, v126
	v_dot4c_i32_i8 v78, v121, v123
	v_dot4c_i32_i8 v80, v121, v124
	v_dot4c_i32_i8 v79, v121, v125
	v_dot4c_i32_i8 v77, v121, v126
	v_dot4c_i32_i8 v66, v122, v123
	v_dot4c_i32_i8 v69, v122, v124
	v_dot4c_i32_i8 v67, v122, v125
	v_dot4c_i32_i8 v65, v122, v126
	s_waitcnt lgkmcnt(1)
	v_dot4c_i32_i8 v90, v119, v127
	v_dot4c_i32_i8 v93, v119, v128
	v_dot4c_i32_i8 v91, v119, v129
	v_dot4c_i32_i8 v89, v119, v130
	v_dot4c_i32_i8 v84, v120, v127
	v_dot4c_i32_i8 v88, v120, v128
	v_dot4c_i32_i8 v87, v120, v129
	v_dot4c_i32_i8 v83, v120, v130
	v_dot4c_i32_i8 v74, v121, v127
	v_dot4c_i32_i8 v76, v121, v128
	v_dot4c_i32_i8 v75, v121, v129
	v_dot4c_i32_i8 v73, v121, v130
	v_dot4c_i32_i8 v70, v122, v127
	v_dot4c_i32_i8 v72, v122, v128
	v_dot4c_i32_i8 v71, v122, v129
	v_dot4c_i32_i8 v68, v122, v130
	;; [unrolled: 17-line block ×3, first 2 shown]
	v_dot4c_i32_i8 v36, v131, v127
	v_dot4c_i32_i8 v43, v131, v128
	;; [unrolled: 1-line block ×16, first 2 shown]
	ds_read_b128 v[119:122], v99 offset:11264
	ds_read_b128 v[123:126], v32 offset:27648
	;; [unrolled: 1-line block ×4, first 2 shown]
	s_waitcnt lgkmcnt(2)
	v_dot4c_i32_i8 v95, v119, v123
	v_dot4c_i32_i8 v97, v119, v124
	v_dot4c_i32_i8 v96, v119, v125
	v_dot4c_i32_i8 v92, v119, v126
	v_dot4c_i32_i8 v82, v120, v123
	v_dot4c_i32_i8 v86, v120, v124
	v_dot4c_i32_i8 v85, v120, v125
	v_dot4c_i32_i8 v81, v120, v126
	v_dot4c_i32_i8 v78, v121, v123
	v_dot4c_i32_i8 v80, v121, v124
	v_dot4c_i32_i8 v79, v121, v125
	v_dot4c_i32_i8 v77, v121, v126
	v_dot4c_i32_i8 v66, v122, v123
	v_dot4c_i32_i8 v69, v122, v124
	v_dot4c_i32_i8 v67, v122, v125
	v_dot4c_i32_i8 v65, v122, v126
	s_waitcnt lgkmcnt(1)
	v_dot4c_i32_i8 v90, v119, v127
	v_dot4c_i32_i8 v93, v119, v128
	v_dot4c_i32_i8 v91, v119, v129
	v_dot4c_i32_i8 v89, v119, v130
	v_dot4c_i32_i8 v84, v120, v127
	v_dot4c_i32_i8 v88, v120, v128
	v_dot4c_i32_i8 v87, v120, v129
	v_dot4c_i32_i8 v83, v120, v130
	v_dot4c_i32_i8 v74, v121, v127
	v_dot4c_i32_i8 v76, v121, v128
	v_dot4c_i32_i8 v75, v121, v129
	v_dot4c_i32_i8 v73, v121, v130
	v_dot4c_i32_i8 v70, v122, v127
	v_dot4c_i32_i8 v72, v122, v128
	v_dot4c_i32_i8 v71, v122, v129
	v_dot4c_i32_i8 v68, v122, v130
	;; [unrolled: 17-line block ×3, first 2 shown]
	v_dot4c_i32_i8 v36, v131, v127
	v_dot4c_i32_i8 v43, v131, v128
	;; [unrolled: 1-line block ×16, first 2 shown]
	ds_read_b128 v[119:122], v99 offset:11776
	ds_read_b128 v[123:126], v32 offset:28160
	;; [unrolled: 1-line block ×4, first 2 shown]
	s_waitcnt lgkmcnt(2)
	v_dot4c_i32_i8 v95, v119, v123
	v_dot4c_i32_i8 v97, v119, v124
	v_dot4c_i32_i8 v96, v119, v125
	v_dot4c_i32_i8 v92, v119, v126
	v_dot4c_i32_i8 v82, v120, v123
	v_dot4c_i32_i8 v86, v120, v124
	v_dot4c_i32_i8 v85, v120, v125
	v_dot4c_i32_i8 v81, v120, v126
	v_dot4c_i32_i8 v78, v121, v123
	v_dot4c_i32_i8 v80, v121, v124
	v_dot4c_i32_i8 v79, v121, v125
	v_dot4c_i32_i8 v77, v121, v126
	v_dot4c_i32_i8 v66, v122, v123
	v_dot4c_i32_i8 v69, v122, v124
	v_dot4c_i32_i8 v67, v122, v125
	v_dot4c_i32_i8 v65, v122, v126
	s_waitcnt lgkmcnt(1)
	v_dot4c_i32_i8 v90, v119, v127
	v_dot4c_i32_i8 v93, v119, v128
	v_dot4c_i32_i8 v91, v119, v129
	v_dot4c_i32_i8 v89, v119, v130
	v_dot4c_i32_i8 v84, v120, v127
	v_dot4c_i32_i8 v88, v120, v128
	v_dot4c_i32_i8 v87, v120, v129
	v_dot4c_i32_i8 v83, v120, v130
	v_dot4c_i32_i8 v74, v121, v127
	v_dot4c_i32_i8 v76, v121, v128
	v_dot4c_i32_i8 v75, v121, v129
	v_dot4c_i32_i8 v73, v121, v130
	v_dot4c_i32_i8 v70, v122, v127
	v_dot4c_i32_i8 v72, v122, v128
	v_dot4c_i32_i8 v71, v122, v129
	v_dot4c_i32_i8 v68, v122, v130
	;; [unrolled: 17-line block ×3, first 2 shown]
	v_dot4c_i32_i8 v36, v131, v127
	v_dot4c_i32_i8 v43, v131, v128
	;; [unrolled: 1-line block ×16, first 2 shown]
	ds_read_b128 v[119:122], v99 offset:12288
	ds_read_b128 v[123:126], v32 offset:28672
	ds_read_b128 v[127:130], v32 offset:28928
	ds_read_b128 v[131:134], v99 offset:12544
	s_waitcnt lgkmcnt(2)
	v_dot4c_i32_i8 v95, v119, v123
	v_dot4c_i32_i8 v97, v119, v124
	v_dot4c_i32_i8 v96, v119, v125
	v_dot4c_i32_i8 v92, v119, v126
	v_dot4c_i32_i8 v82, v120, v123
	v_dot4c_i32_i8 v86, v120, v124
	v_dot4c_i32_i8 v85, v120, v125
	v_dot4c_i32_i8 v81, v120, v126
	v_dot4c_i32_i8 v78, v121, v123
	v_dot4c_i32_i8 v80, v121, v124
	v_dot4c_i32_i8 v79, v121, v125
	v_dot4c_i32_i8 v77, v121, v126
	v_dot4c_i32_i8 v66, v122, v123
	v_dot4c_i32_i8 v69, v122, v124
	v_dot4c_i32_i8 v67, v122, v125
	v_dot4c_i32_i8 v65, v122, v126
	s_waitcnt lgkmcnt(1)
	v_dot4c_i32_i8 v90, v119, v127
	v_dot4c_i32_i8 v93, v119, v128
	v_dot4c_i32_i8 v91, v119, v129
	v_dot4c_i32_i8 v89, v119, v130
	v_dot4c_i32_i8 v84, v120, v127
	v_dot4c_i32_i8 v88, v120, v128
	v_dot4c_i32_i8 v87, v120, v129
	v_dot4c_i32_i8 v83, v120, v130
	v_dot4c_i32_i8 v74, v121, v127
	v_dot4c_i32_i8 v76, v121, v128
	v_dot4c_i32_i8 v75, v121, v129
	v_dot4c_i32_i8 v73, v121, v130
	v_dot4c_i32_i8 v70, v122, v127
	v_dot4c_i32_i8 v72, v122, v128
	v_dot4c_i32_i8 v71, v122, v129
	v_dot4c_i32_i8 v68, v122, v130
	;; [unrolled: 17-line block ×3, first 2 shown]
	v_dot4c_i32_i8 v36, v131, v127
	v_dot4c_i32_i8 v43, v131, v128
	;; [unrolled: 1-line block ×16, first 2 shown]
	ds_read_b128 v[119:122], v99 offset:12800
	ds_read_b128 v[123:126], v32 offset:29184
	;; [unrolled: 1-line block ×4, first 2 shown]
	s_waitcnt lgkmcnt(2)
	v_dot4c_i32_i8 v95, v119, v123
	v_dot4c_i32_i8 v97, v119, v124
	v_dot4c_i32_i8 v96, v119, v125
	v_dot4c_i32_i8 v92, v119, v126
	v_dot4c_i32_i8 v82, v120, v123
	v_dot4c_i32_i8 v86, v120, v124
	v_dot4c_i32_i8 v85, v120, v125
	v_dot4c_i32_i8 v81, v120, v126
	v_dot4c_i32_i8 v78, v121, v123
	v_dot4c_i32_i8 v80, v121, v124
	v_dot4c_i32_i8 v79, v121, v125
	v_dot4c_i32_i8 v77, v121, v126
	v_dot4c_i32_i8 v66, v122, v123
	v_dot4c_i32_i8 v69, v122, v124
	v_dot4c_i32_i8 v67, v122, v125
	v_dot4c_i32_i8 v65, v122, v126
	s_waitcnt lgkmcnt(1)
	v_dot4c_i32_i8 v90, v119, v127
	v_dot4c_i32_i8 v93, v119, v128
	v_dot4c_i32_i8 v91, v119, v129
	v_dot4c_i32_i8 v89, v119, v130
	v_dot4c_i32_i8 v84, v120, v127
	v_dot4c_i32_i8 v88, v120, v128
	v_dot4c_i32_i8 v87, v120, v129
	v_dot4c_i32_i8 v83, v120, v130
	v_dot4c_i32_i8 v74, v121, v127
	v_dot4c_i32_i8 v76, v121, v128
	v_dot4c_i32_i8 v75, v121, v129
	v_dot4c_i32_i8 v73, v121, v130
	v_dot4c_i32_i8 v70, v122, v127
	v_dot4c_i32_i8 v72, v122, v128
	v_dot4c_i32_i8 v71, v122, v129
	v_dot4c_i32_i8 v68, v122, v130
	;; [unrolled: 17-line block ×3, first 2 shown]
	v_dot4c_i32_i8 v36, v131, v127
	v_dot4c_i32_i8 v43, v131, v128
	;; [unrolled: 1-line block ×16, first 2 shown]
	ds_read_b128 v[119:122], v99 offset:13312
	ds_read_b128 v[123:126], v32 offset:29696
	;; [unrolled: 1-line block ×4, first 2 shown]
	s_waitcnt lgkmcnt(2)
	v_dot4c_i32_i8 v95, v119, v123
	v_dot4c_i32_i8 v97, v119, v124
	v_dot4c_i32_i8 v96, v119, v125
	v_dot4c_i32_i8 v92, v119, v126
	v_dot4c_i32_i8 v82, v120, v123
	v_dot4c_i32_i8 v86, v120, v124
	v_dot4c_i32_i8 v85, v120, v125
	v_dot4c_i32_i8 v81, v120, v126
	v_dot4c_i32_i8 v78, v121, v123
	v_dot4c_i32_i8 v80, v121, v124
	v_dot4c_i32_i8 v79, v121, v125
	v_dot4c_i32_i8 v77, v121, v126
	v_dot4c_i32_i8 v66, v122, v123
	v_dot4c_i32_i8 v69, v122, v124
	v_dot4c_i32_i8 v67, v122, v125
	v_dot4c_i32_i8 v65, v122, v126
	s_waitcnt lgkmcnt(1)
	v_dot4c_i32_i8 v90, v119, v127
	v_dot4c_i32_i8 v93, v119, v128
	v_dot4c_i32_i8 v91, v119, v129
	v_dot4c_i32_i8 v89, v119, v130
	v_dot4c_i32_i8 v84, v120, v127
	v_dot4c_i32_i8 v88, v120, v128
	v_dot4c_i32_i8 v87, v120, v129
	v_dot4c_i32_i8 v83, v120, v130
	v_dot4c_i32_i8 v74, v121, v127
	v_dot4c_i32_i8 v76, v121, v128
	v_dot4c_i32_i8 v75, v121, v129
	v_dot4c_i32_i8 v73, v121, v130
	v_dot4c_i32_i8 v70, v122, v127
	v_dot4c_i32_i8 v72, v122, v128
	v_dot4c_i32_i8 v71, v122, v129
	v_dot4c_i32_i8 v68, v122, v130
	;; [unrolled: 17-line block ×3, first 2 shown]
	v_dot4c_i32_i8 v36, v131, v127
	v_dot4c_i32_i8 v43, v131, v128
	;; [unrolled: 1-line block ×16, first 2 shown]
	ds_read_b128 v[119:122], v99 offset:13824
	ds_read_b128 v[123:126], v32 offset:30208
	;; [unrolled: 1-line block ×4, first 2 shown]
	s_waitcnt lgkmcnt(2)
	v_dot4c_i32_i8 v95, v119, v123
	v_dot4c_i32_i8 v97, v119, v124
	v_dot4c_i32_i8 v96, v119, v125
	v_dot4c_i32_i8 v92, v119, v126
	v_dot4c_i32_i8 v82, v120, v123
	v_dot4c_i32_i8 v86, v120, v124
	v_dot4c_i32_i8 v85, v120, v125
	v_dot4c_i32_i8 v81, v120, v126
	v_dot4c_i32_i8 v78, v121, v123
	v_dot4c_i32_i8 v80, v121, v124
	v_dot4c_i32_i8 v79, v121, v125
	v_dot4c_i32_i8 v77, v121, v126
	v_dot4c_i32_i8 v66, v122, v123
	v_dot4c_i32_i8 v69, v122, v124
	v_dot4c_i32_i8 v67, v122, v125
	v_dot4c_i32_i8 v65, v122, v126
	s_waitcnt lgkmcnt(1)
	v_dot4c_i32_i8 v90, v119, v127
	v_dot4c_i32_i8 v93, v119, v128
	v_dot4c_i32_i8 v91, v119, v129
	v_dot4c_i32_i8 v89, v119, v130
	v_dot4c_i32_i8 v84, v120, v127
	v_dot4c_i32_i8 v88, v120, v128
	v_dot4c_i32_i8 v87, v120, v129
	v_dot4c_i32_i8 v83, v120, v130
	v_dot4c_i32_i8 v74, v121, v127
	v_dot4c_i32_i8 v76, v121, v128
	v_dot4c_i32_i8 v75, v121, v129
	v_dot4c_i32_i8 v73, v121, v130
	v_dot4c_i32_i8 v70, v122, v127
	v_dot4c_i32_i8 v72, v122, v128
	v_dot4c_i32_i8 v71, v122, v129
	v_dot4c_i32_i8 v68, v122, v130
	;; [unrolled: 17-line block ×3, first 2 shown]
	v_dot4c_i32_i8 v36, v131, v127
	v_dot4c_i32_i8 v43, v131, v128
	;; [unrolled: 1-line block ×16, first 2 shown]
	ds_read_b128 v[119:122], v99 offset:14336
	ds_read_b128 v[123:126], v32 offset:30720
	ds_read_b128 v[127:130], v32 offset:30976
	ds_read_b128 v[131:134], v99 offset:14592
	s_waitcnt lgkmcnt(2)
	v_dot4c_i32_i8 v95, v119, v123
	v_dot4c_i32_i8 v97, v119, v124
	v_dot4c_i32_i8 v96, v119, v125
	v_dot4c_i32_i8 v92, v119, v126
	v_dot4c_i32_i8 v82, v120, v123
	v_dot4c_i32_i8 v86, v120, v124
	v_dot4c_i32_i8 v85, v120, v125
	v_dot4c_i32_i8 v81, v120, v126
	v_dot4c_i32_i8 v78, v121, v123
	v_dot4c_i32_i8 v80, v121, v124
	v_dot4c_i32_i8 v79, v121, v125
	v_dot4c_i32_i8 v77, v121, v126
	v_dot4c_i32_i8 v66, v122, v123
	v_dot4c_i32_i8 v69, v122, v124
	v_dot4c_i32_i8 v67, v122, v125
	v_dot4c_i32_i8 v65, v122, v126
	s_waitcnt lgkmcnt(1)
	v_dot4c_i32_i8 v90, v119, v127
	v_dot4c_i32_i8 v93, v119, v128
	v_dot4c_i32_i8 v91, v119, v129
	v_dot4c_i32_i8 v89, v119, v130
	v_dot4c_i32_i8 v84, v120, v127
	v_dot4c_i32_i8 v88, v120, v128
	v_dot4c_i32_i8 v87, v120, v129
	v_dot4c_i32_i8 v83, v120, v130
	v_dot4c_i32_i8 v74, v121, v127
	v_dot4c_i32_i8 v76, v121, v128
	v_dot4c_i32_i8 v75, v121, v129
	v_dot4c_i32_i8 v73, v121, v130
	v_dot4c_i32_i8 v70, v122, v127
	v_dot4c_i32_i8 v72, v122, v128
	v_dot4c_i32_i8 v71, v122, v129
	v_dot4c_i32_i8 v68, v122, v130
	;; [unrolled: 17-line block ×3, first 2 shown]
	v_dot4c_i32_i8 v36, v131, v127
	v_dot4c_i32_i8 v43, v131, v128
	;; [unrolled: 1-line block ×16, first 2 shown]
	ds_read_b128 v[119:122], v99 offset:14848
	ds_read_b128 v[123:126], v32 offset:31232
	ds_read_b128 v[127:130], v32 offset:31488
	ds_read_b128 v[131:134], v99 offset:15104
	s_waitcnt lgkmcnt(2)
	v_dot4c_i32_i8 v95, v119, v123
	v_dot4c_i32_i8 v97, v119, v124
	v_dot4c_i32_i8 v96, v119, v125
	v_dot4c_i32_i8 v92, v119, v126
	v_dot4c_i32_i8 v82, v120, v123
	v_dot4c_i32_i8 v86, v120, v124
	v_dot4c_i32_i8 v85, v120, v125
	v_dot4c_i32_i8 v81, v120, v126
	v_dot4c_i32_i8 v78, v121, v123
	v_dot4c_i32_i8 v80, v121, v124
	v_dot4c_i32_i8 v79, v121, v125
	v_dot4c_i32_i8 v77, v121, v126
	v_dot4c_i32_i8 v66, v122, v123
	v_dot4c_i32_i8 v69, v122, v124
	v_dot4c_i32_i8 v67, v122, v125
	v_dot4c_i32_i8 v65, v122, v126
	s_waitcnt lgkmcnt(1)
	v_dot4c_i32_i8 v90, v119, v127
	v_dot4c_i32_i8 v93, v119, v128
	v_dot4c_i32_i8 v91, v119, v129
	v_dot4c_i32_i8 v89, v119, v130
	v_dot4c_i32_i8 v84, v120, v127
	v_dot4c_i32_i8 v88, v120, v128
	v_dot4c_i32_i8 v87, v120, v129
	v_dot4c_i32_i8 v83, v120, v130
	v_dot4c_i32_i8 v74, v121, v127
	v_dot4c_i32_i8 v76, v121, v128
	v_dot4c_i32_i8 v75, v121, v129
	v_dot4c_i32_i8 v73, v121, v130
	v_dot4c_i32_i8 v70, v122, v127
	v_dot4c_i32_i8 v72, v122, v128
	v_dot4c_i32_i8 v71, v122, v129
	v_dot4c_i32_i8 v68, v122, v130
	s_waitcnt lgkmcnt(0)
	v_dot4c_i32_i8 v37, v131, v123
	v_dot4c_i32_i8 v40, v131, v124
	v_dot4c_i32_i8 v38, v131, v125
	v_dot4c_i32_i8 v35, v131, v126
	v_dot4c_i32_i8 v47, v132, v123
	v_dot4c_i32_i8 v50, v132, v124
	v_dot4c_i32_i8 v48, v132, v125
	v_dot4c_i32_i8 v45, v132, v126
	v_dot4c_i32_i8 v51, v133, v123
	v_dot4c_i32_i8 v55, v133, v124
	v_dot4c_i32_i8 v53, v133, v125
	v_dot4c_i32_i8 v49, v133, v126
	v_dot4c_i32_i8 v62, v134, v123
	v_dot4c_i32_i8 v64, v134, v124
	v_dot4c_i32_i8 v63, v134, v125
	v_dot4c_i32_i8 v61, v134, v126
	v_dot4c_i32_i8 v36, v131, v127
	v_dot4c_i32_i8 v43, v131, v128
	;; [unrolled: 1-line block ×16, first 2 shown]
	ds_read_b128 v[119:122], v99 offset:15360
	ds_read_b128 v[123:126], v32 offset:31744
	;; [unrolled: 1-line block ×4, first 2 shown]
	s_waitcnt lgkmcnt(2)
	v_dot4c_i32_i8 v95, v119, v123
	v_dot4c_i32_i8 v97, v119, v124
	v_dot4c_i32_i8 v96, v119, v125
	v_dot4c_i32_i8 v92, v119, v126
	v_dot4c_i32_i8 v82, v120, v123
	v_dot4c_i32_i8 v86, v120, v124
	v_dot4c_i32_i8 v85, v120, v125
	v_dot4c_i32_i8 v81, v120, v126
	v_dot4c_i32_i8 v78, v121, v123
	v_dot4c_i32_i8 v80, v121, v124
	v_dot4c_i32_i8 v79, v121, v125
	v_dot4c_i32_i8 v77, v121, v126
	v_dot4c_i32_i8 v66, v122, v123
	v_dot4c_i32_i8 v69, v122, v124
	v_dot4c_i32_i8 v67, v122, v125
	v_dot4c_i32_i8 v65, v122, v126
	s_waitcnt lgkmcnt(1)
	v_dot4c_i32_i8 v90, v119, v127
	v_dot4c_i32_i8 v93, v119, v128
	v_dot4c_i32_i8 v91, v119, v129
	v_dot4c_i32_i8 v89, v119, v130
	v_dot4c_i32_i8 v84, v120, v127
	v_dot4c_i32_i8 v88, v120, v128
	v_dot4c_i32_i8 v87, v120, v129
	v_dot4c_i32_i8 v83, v120, v130
	v_dot4c_i32_i8 v74, v121, v127
	v_dot4c_i32_i8 v76, v121, v128
	v_dot4c_i32_i8 v75, v121, v129
	v_dot4c_i32_i8 v73, v121, v130
	v_dot4c_i32_i8 v70, v122, v127
	v_dot4c_i32_i8 v72, v122, v128
	v_dot4c_i32_i8 v71, v122, v129
	v_dot4c_i32_i8 v68, v122, v130
	;; [unrolled: 17-line block ×3, first 2 shown]
	v_dot4c_i32_i8 v36, v131, v127
	v_dot4c_i32_i8 v43, v131, v128
	;; [unrolled: 1-line block ×16, first 2 shown]
	ds_read_b128 v[119:122], v99 offset:15872
	ds_read_b128 v[123:126], v32 offset:32256
	;; [unrolled: 1-line block ×4, first 2 shown]
	s_waitcnt lgkmcnt(2)
	v_dot4c_i32_i8 v95, v119, v123
	v_dot4c_i32_i8 v97, v119, v124
	v_dot4c_i32_i8 v96, v119, v125
	v_dot4c_i32_i8 v92, v119, v126
	v_dot4c_i32_i8 v82, v120, v123
	v_dot4c_i32_i8 v86, v120, v124
	v_dot4c_i32_i8 v85, v120, v125
	v_dot4c_i32_i8 v81, v120, v126
	v_dot4c_i32_i8 v78, v121, v123
	v_dot4c_i32_i8 v80, v121, v124
	v_dot4c_i32_i8 v79, v121, v125
	v_dot4c_i32_i8 v77, v121, v126
	v_dot4c_i32_i8 v66, v122, v123
	v_dot4c_i32_i8 v69, v122, v124
	v_dot4c_i32_i8 v67, v122, v125
	v_dot4c_i32_i8 v65, v122, v126
	s_waitcnt lgkmcnt(1)
	v_dot4c_i32_i8 v90, v119, v127
	v_dot4c_i32_i8 v93, v119, v128
	;; [unrolled: 1-line block ×16, first 2 shown]
	s_waitcnt vmcnt(14)
	v_perm_b32 v119, v115, v116, 0xc0c0004
	s_waitcnt vmcnt(12)
	v_perm_b32 v120, v117, v118, 0xc0c0004
	v_perm_b32 v121, v115, v116, 0xc0c0105
	;; [unrolled: 1-line block ×3, first 2 shown]
	s_waitcnt lgkmcnt(0)
	v_dot4c_i32_i8 v37, v131, v123
	v_dot4c_i32_i8 v40, v131, v124
	v_lshl_or_b32 v119, v120, 16, v119
	v_dot4c_i32_i8 v38, v131, v125
	v_lshl_or_b32 v120, v122, 16, v121
	v_perm_b32 v121, v115, v116, 0xc0c0206
	v_perm_b32 v122, v117, v118, 0xc0c0206
	;; [unrolled: 1-line block ×4, first 2 shown]
	s_waitcnt vmcnt(8)
	v_perm_b32 v117, v114, v113, 0xc0c0105
	v_perm_b32 v118, v112, v111, 0xc0c0105
	v_lshl_or_b32 v121, v122, 16, v121
	v_dot4c_i32_i8 v35, v131, v126
	v_lshl_or_b32 v122, v116, 16, v115
	v_perm_b32 v115, v114, v113, 0xc0c0004
	v_perm_b32 v116, v112, v111, 0xc0c0004
	v_dot4c_i32_i8 v47, v132, v123
	v_dot4c_i32_i8 v50, v132, v124
	;; [unrolled: 1-line block ×4, first 2 shown]
	v_lshl_or_b32 v115, v116, 16, v115
	v_lshl_or_b32 v116, v118, 16, v117
	v_perm_b32 v117, v114, v113, 0xc0c0206
	v_perm_b32 v118, v112, v111, 0xc0c0206
	;; [unrolled: 1-line block ×4, first 2 shown]
	s_waitcnt vmcnt(1)
	v_perm_b32 v112, v109, v110, 0xc0c0004
	v_perm_b32 v114, v109, v110, 0xc0c0105
	v_lshl_or_b32 v117, v118, 16, v117
	v_dot4c_i32_i8 v51, v133, v123
	v_lshl_or_b32 v118, v111, 16, v113
	v_perm_b32 v111, v107, v108, 0xc0c0004
	v_perm_b32 v113, v107, v108, 0xc0c0105
	v_dot4c_i32_i8 v55, v133, v124
	v_dot4c_i32_i8 v53, v133, v125
	v_dot4c_i32_i8 v49, v133, v126
	v_lshl_or_b32 v111, v112, 16, v111
	v_lshl_or_b32 v112, v114, 16, v113
	v_perm_b32 v113, v107, v108, 0xc0c0206
	v_perm_b32 v114, v109, v110, 0xc0c0206
	;; [unrolled: 1-line block ×5, first 2 shown]
	s_waitcnt vmcnt(0)
	v_perm_b32 v110, v104, v103, 0xc0c0105
	v_lshl_or_b32 v113, v114, 16, v113
	v_dot4c_i32_i8 v62, v134, v123
	v_lshl_or_b32 v114, v108, 16, v107
	v_perm_b32 v107, v106, v105, 0xc0c0004
	v_perm_b32 v108, v104, v103, 0xc0c0004
	v_dot4c_i32_i8 v64, v134, v124
	v_dot4c_i32_i8 v63, v134, v125
	;; [unrolled: 1-line block ×4, first 2 shown]
	v_lshl_or_b32 v107, v108, 16, v107
	v_lshl_or_b32 v108, v110, 16, v109
	v_perm_b32 v109, v106, v105, 0xc0c0206
	v_perm_b32 v110, v104, v103, 0xc0c0206
	;; [unrolled: 1-line block ×4, first 2 shown]
	v_dot4c_i32_i8 v43, v131, v128
	v_dot4c_i32_i8 v41, v131, v129
	;; [unrolled: 1-line block ×15, first 2 shown]
	v_lshl_or_b32 v109, v110, 16, v109
	v_lshl_or_b32 v110, v103, 16, v105
	ds_write_b128 v101, v[119:122]
	ds_write_b128 v101, v[115:118] offset:512
	ds_write_b128 v101, v[111:114] offset:16384
	;; [unrolled: 1-line block ×3, first 2 shown]
	s_cbranch_vccnz .LBB2_1
; %bb.2:
	s_waitcnt lgkmcnt(0)
	s_barrier
	buffer_gl0_inv
	ds_read_b128 v[0:3], v99
	ds_read_b128 v[4:7], v32 offset:16384
	ds_read_b128 v[8:11], v32 offset:16640
	;; [unrolled: 1-line block ×4, first 2 shown]
	s_and_b32 s1, s1, 0xffff
	s_mov_b32 s3, 0x31014000
	s_waitcnt lgkmcnt(3)
	v_dot4c_i32_i8 v95, v0, v4
	v_dot4c_i32_i8 v97, v0, v5
	;; [unrolled: 1-line block ×16, first 2 shown]
	s_waitcnt lgkmcnt(2)
	v_dot4c_i32_i8 v90, v0, v8
	v_dot4c_i32_i8 v93, v0, v9
	;; [unrolled: 1-line block ×16, first 2 shown]
	ds_read_b128 v[0:3], v99 offset:512
	s_waitcnt lgkmcnt(2)
	v_dot4c_i32_i8 v37, v12, v4
	v_dot4c_i32_i8 v40, v12, v5
	;; [unrolled: 1-line block ×30, first 2 shown]
	ds_read_b128 v[4:7], v32 offset:17152
	v_dot4c_i32_i8 v58, v15, v10
	v_dot4c_i32_i8 v33, v15, v11
	ds_read_b128 v[8:11], v99 offset:768
	s_waitcnt lgkmcnt(2)
	v_dot4c_i32_i8 v95, v0, v16
	v_dot4c_i32_i8 v97, v0, v17
	;; [unrolled: 1-line block ×16, first 2 shown]
	s_waitcnt lgkmcnt(1)
	v_dot4c_i32_i8 v90, v0, v4
	v_dot4c_i32_i8 v93, v0, v5
	;; [unrolled: 1-line block ×16, first 2 shown]
	ds_read_b128 v[0:3], v99 offset:1024
	s_waitcnt lgkmcnt(1)
	v_dot4c_i32_i8 v37, v8, v16
	v_dot4c_i32_i8 v40, v8, v17
	;; [unrolled: 1-line block ×15, first 2 shown]
	ds_read_b128 v[12:15], v32 offset:17408
	v_dot4c_i32_i8 v61, v11, v19
	v_dot4c_i32_i8 v36, v8, v4
	;; [unrolled: 1-line block ×15, first 2 shown]
	ds_read_b128 v[16:19], v32 offset:17664
	v_dot4c_i32_i8 v58, v11, v6
	v_dot4c_i32_i8 v33, v11, v7
	ds_read_b128 v[4:7], v99 offset:1280
	s_waitcnt lgkmcnt(2)
	v_dot4c_i32_i8 v95, v0, v12
	v_dot4c_i32_i8 v97, v0, v13
	;; [unrolled: 1-line block ×16, first 2 shown]
	s_waitcnt lgkmcnt(1)
	v_dot4c_i32_i8 v90, v0, v16
	v_dot4c_i32_i8 v93, v0, v17
	;; [unrolled: 1-line block ×16, first 2 shown]
	ds_read_b128 v[0:3], v99 offset:1536
	s_waitcnt lgkmcnt(1)
	v_dot4c_i32_i8 v37, v4, v12
	v_dot4c_i32_i8 v40, v4, v13
	;; [unrolled: 1-line block ×15, first 2 shown]
	ds_read_b128 v[8:11], v32 offset:17920
	v_dot4c_i32_i8 v61, v7, v15
	v_dot4c_i32_i8 v36, v4, v16
	;; [unrolled: 1-line block ×15, first 2 shown]
	ds_read_b128 v[12:15], v32 offset:18176
	v_dot4c_i32_i8 v58, v7, v18
	v_dot4c_i32_i8 v33, v7, v19
	ds_read_b128 v[4:7], v99 offset:1792
	s_waitcnt lgkmcnt(2)
	v_dot4c_i32_i8 v95, v0, v8
	v_dot4c_i32_i8 v97, v0, v9
	;; [unrolled: 1-line block ×16, first 2 shown]
	s_waitcnt lgkmcnt(1)
	v_dot4c_i32_i8 v90, v0, v12
	v_dot4c_i32_i8 v93, v0, v13
	;; [unrolled: 1-line block ×16, first 2 shown]
	ds_read_b128 v[0:3], v99 offset:2048
	s_waitcnt lgkmcnt(1)
	v_dot4c_i32_i8 v37, v4, v8
	v_dot4c_i32_i8 v40, v4, v9
	;; [unrolled: 1-line block ×15, first 2 shown]
	ds_read_b128 v[16:19], v32 offset:18432
	v_dot4c_i32_i8 v61, v7, v11
	v_dot4c_i32_i8 v36, v4, v12
	;; [unrolled: 1-line block ×15, first 2 shown]
	ds_read_b128 v[8:11], v32 offset:18688
	v_dot4c_i32_i8 v58, v7, v14
	v_dot4c_i32_i8 v33, v7, v15
	ds_read_b128 v[4:7], v99 offset:2304
	s_waitcnt lgkmcnt(2)
	v_dot4c_i32_i8 v95, v0, v16
	v_dot4c_i32_i8 v97, v0, v17
	;; [unrolled: 1-line block ×16, first 2 shown]
	s_waitcnt lgkmcnt(1)
	v_dot4c_i32_i8 v90, v0, v8
	v_dot4c_i32_i8 v93, v0, v9
	;; [unrolled: 1-line block ×16, first 2 shown]
	ds_read_b128 v[0:3], v99 offset:2560
	s_waitcnt lgkmcnt(1)
	v_dot4c_i32_i8 v37, v4, v16
	v_dot4c_i32_i8 v40, v4, v17
	;; [unrolled: 1-line block ×15, first 2 shown]
	ds_read_b128 v[12:15], v32 offset:18944
	v_dot4c_i32_i8 v61, v7, v19
	v_dot4c_i32_i8 v36, v4, v8
	;; [unrolled: 1-line block ×15, first 2 shown]
	ds_read_b128 v[16:19], v32 offset:19200
	v_dot4c_i32_i8 v58, v7, v10
	v_dot4c_i32_i8 v33, v7, v11
	ds_read_b128 v[4:7], v99 offset:2816
	s_waitcnt lgkmcnt(2)
	v_dot4c_i32_i8 v95, v0, v12
	v_dot4c_i32_i8 v97, v0, v13
	;; [unrolled: 1-line block ×16, first 2 shown]
	s_waitcnt lgkmcnt(1)
	v_dot4c_i32_i8 v90, v0, v16
	v_dot4c_i32_i8 v93, v0, v17
	;; [unrolled: 1-line block ×16, first 2 shown]
	ds_read_b128 v[0:3], v99 offset:3072
	s_waitcnt lgkmcnt(1)
	v_dot4c_i32_i8 v37, v4, v12
	v_dot4c_i32_i8 v40, v4, v13
	;; [unrolled: 1-line block ×15, first 2 shown]
	ds_read_b128 v[8:11], v32 offset:19456
	v_dot4c_i32_i8 v61, v7, v15
	v_dot4c_i32_i8 v36, v4, v16
	v_dot4c_i32_i8 v43, v4, v17
	v_dot4c_i32_i8 v41, v4, v18
	v_dot4c_i32_i8 v34, v4, v19
	v_dot4c_i32_i8 v42, v5, v16
	v_dot4c_i32_i8 v46, v5, v17
	v_dot4c_i32_i8 v44, v5, v18
	v_dot4c_i32_i8 v39, v5, v19
	v_dot4c_i32_i8 v56, v6, v16
	v_dot4c_i32_i8 v59, v6, v17
	v_dot4c_i32_i8 v57, v6, v18
	v_dot4c_i32_i8 v54, v6, v19
	v_dot4c_i32_i8 v52, v7, v16
	v_dot4c_i32_i8 v60, v7, v17
	ds_read_b128 v[12:15], v32 offset:19712
	v_dot4c_i32_i8 v58, v7, v18
	v_dot4c_i32_i8 v33, v7, v19
	ds_read_b128 v[4:7], v99 offset:3328
	s_waitcnt lgkmcnt(2)
	v_dot4c_i32_i8 v95, v0, v8
	v_dot4c_i32_i8 v97, v0, v9
	v_dot4c_i32_i8 v96, v0, v10
	v_dot4c_i32_i8 v92, v0, v11
	v_dot4c_i32_i8 v82, v1, v8
	v_dot4c_i32_i8 v86, v1, v9
	v_dot4c_i32_i8 v85, v1, v10
	v_dot4c_i32_i8 v81, v1, v11
	v_dot4c_i32_i8 v78, v2, v8
	v_dot4c_i32_i8 v80, v2, v9
	v_dot4c_i32_i8 v79, v2, v10
	v_dot4c_i32_i8 v77, v2, v11
	v_dot4c_i32_i8 v66, v3, v8
	v_dot4c_i32_i8 v69, v3, v9
	v_dot4c_i32_i8 v67, v3, v10
	v_dot4c_i32_i8 v65, v3, v11
	s_waitcnt lgkmcnt(1)
	v_dot4c_i32_i8 v90, v0, v12
	v_dot4c_i32_i8 v93, v0, v13
	;; [unrolled: 1-line block ×16, first 2 shown]
	ds_read_b128 v[0:3], v99 offset:3584
	s_waitcnt lgkmcnt(1)
	v_dot4c_i32_i8 v37, v4, v8
	v_dot4c_i32_i8 v40, v4, v9
	;; [unrolled: 1-line block ×15, first 2 shown]
	ds_read_b128 v[16:19], v32 offset:19968
	v_dot4c_i32_i8 v61, v7, v11
	v_dot4c_i32_i8 v36, v4, v12
	;; [unrolled: 1-line block ×15, first 2 shown]
	ds_read_b128 v[8:11], v32 offset:20224
	v_dot4c_i32_i8 v58, v7, v14
	v_dot4c_i32_i8 v33, v7, v15
	ds_read_b128 v[4:7], v99 offset:3840
	s_waitcnt lgkmcnt(2)
	v_dot4c_i32_i8 v95, v0, v16
	v_dot4c_i32_i8 v97, v0, v17
	;; [unrolled: 1-line block ×16, first 2 shown]
	s_waitcnt lgkmcnt(1)
	v_dot4c_i32_i8 v90, v0, v8
	v_dot4c_i32_i8 v93, v0, v9
	;; [unrolled: 1-line block ×16, first 2 shown]
	ds_read_b128 v[0:3], v99 offset:4096
	s_waitcnt lgkmcnt(1)
	v_dot4c_i32_i8 v37, v4, v16
	v_dot4c_i32_i8 v40, v4, v17
	;; [unrolled: 1-line block ×15, first 2 shown]
	ds_read_b128 v[12:15], v32 offset:20480
	v_dot4c_i32_i8 v61, v7, v19
	v_dot4c_i32_i8 v36, v4, v8
	;; [unrolled: 1-line block ×15, first 2 shown]
	ds_read_b128 v[16:19], v32 offset:20736
	v_dot4c_i32_i8 v58, v7, v10
	v_dot4c_i32_i8 v33, v7, v11
	ds_read_b128 v[4:7], v99 offset:4352
	s_waitcnt lgkmcnt(2)
	v_dot4c_i32_i8 v95, v0, v12
	v_dot4c_i32_i8 v97, v0, v13
	;; [unrolled: 1-line block ×16, first 2 shown]
	s_waitcnt lgkmcnt(1)
	v_dot4c_i32_i8 v90, v0, v16
	v_dot4c_i32_i8 v93, v0, v17
	;; [unrolled: 1-line block ×16, first 2 shown]
	ds_read_b128 v[0:3], v99 offset:4608
	s_waitcnt lgkmcnt(1)
	v_dot4c_i32_i8 v37, v4, v12
	v_dot4c_i32_i8 v40, v4, v13
	;; [unrolled: 1-line block ×15, first 2 shown]
	ds_read_b128 v[8:11], v32 offset:20992
	v_dot4c_i32_i8 v61, v7, v15
	v_dot4c_i32_i8 v36, v4, v16
	;; [unrolled: 1-line block ×15, first 2 shown]
	ds_read_b128 v[12:15], v32 offset:21248
	v_dot4c_i32_i8 v58, v7, v18
	v_dot4c_i32_i8 v33, v7, v19
	ds_read_b128 v[4:7], v99 offset:4864
	s_waitcnt lgkmcnt(2)
	v_dot4c_i32_i8 v95, v0, v8
	v_dot4c_i32_i8 v97, v0, v9
	;; [unrolled: 1-line block ×16, first 2 shown]
	s_waitcnt lgkmcnt(1)
	v_dot4c_i32_i8 v90, v0, v12
	v_dot4c_i32_i8 v93, v0, v13
	;; [unrolled: 1-line block ×16, first 2 shown]
	ds_read_b128 v[0:3], v99 offset:5120
	s_waitcnt lgkmcnt(1)
	v_dot4c_i32_i8 v37, v4, v8
	v_dot4c_i32_i8 v40, v4, v9
	;; [unrolled: 1-line block ×15, first 2 shown]
	ds_read_b128 v[16:19], v32 offset:21504
	v_dot4c_i32_i8 v61, v7, v11
	v_dot4c_i32_i8 v36, v4, v12
	;; [unrolled: 1-line block ×15, first 2 shown]
	ds_read_b128 v[8:11], v32 offset:21760
	v_dot4c_i32_i8 v58, v7, v14
	v_dot4c_i32_i8 v33, v7, v15
	ds_read_b128 v[4:7], v99 offset:5376
	s_waitcnt lgkmcnt(2)
	v_dot4c_i32_i8 v95, v0, v16
	v_dot4c_i32_i8 v97, v0, v17
	;; [unrolled: 1-line block ×16, first 2 shown]
	s_waitcnt lgkmcnt(1)
	v_dot4c_i32_i8 v90, v0, v8
	v_dot4c_i32_i8 v93, v0, v9
	;; [unrolled: 1-line block ×16, first 2 shown]
	ds_read_b128 v[0:3], v99 offset:5632
	s_waitcnt lgkmcnt(1)
	v_dot4c_i32_i8 v37, v4, v16
	v_dot4c_i32_i8 v40, v4, v17
	;; [unrolled: 1-line block ×15, first 2 shown]
	ds_read_b128 v[12:15], v32 offset:22016
	v_dot4c_i32_i8 v61, v7, v19
	v_dot4c_i32_i8 v36, v4, v8
	;; [unrolled: 1-line block ×15, first 2 shown]
	ds_read_b128 v[16:19], v32 offset:22272
	v_dot4c_i32_i8 v58, v7, v10
	v_dot4c_i32_i8 v33, v7, v11
	ds_read_b128 v[4:7], v99 offset:5888
	s_waitcnt lgkmcnt(2)
	v_dot4c_i32_i8 v95, v0, v12
	v_dot4c_i32_i8 v97, v0, v13
	;; [unrolled: 1-line block ×16, first 2 shown]
	s_waitcnt lgkmcnt(1)
	v_dot4c_i32_i8 v90, v0, v16
	v_dot4c_i32_i8 v93, v0, v17
	v_dot4c_i32_i8 v91, v0, v18
	v_dot4c_i32_i8 v89, v0, v19
	v_dot4c_i32_i8 v84, v1, v16
	v_dot4c_i32_i8 v88, v1, v17
	v_dot4c_i32_i8 v87, v1, v18
	v_dot4c_i32_i8 v83, v1, v19
	v_dot4c_i32_i8 v74, v2, v16
	v_dot4c_i32_i8 v76, v2, v17
	v_dot4c_i32_i8 v75, v2, v18
	v_dot4c_i32_i8 v73, v2, v19
	v_dot4c_i32_i8 v70, v3, v16
	v_dot4c_i32_i8 v72, v3, v17
	v_dot4c_i32_i8 v71, v3, v18
	v_dot4c_i32_i8 v68, v3, v19
	ds_read_b128 v[0:3], v99 offset:6144
	s_waitcnt lgkmcnt(1)
	v_dot4c_i32_i8 v37, v4, v12
	v_dot4c_i32_i8 v40, v4, v13
	v_dot4c_i32_i8 v38, v4, v14
	v_dot4c_i32_i8 v35, v4, v15
	v_dot4c_i32_i8 v47, v5, v12
	v_dot4c_i32_i8 v50, v5, v13
	v_dot4c_i32_i8 v48, v5, v14
	v_dot4c_i32_i8 v45, v5, v15
	v_dot4c_i32_i8 v51, v6, v12
	v_dot4c_i32_i8 v55, v6, v13
	v_dot4c_i32_i8 v53, v6, v14
	v_dot4c_i32_i8 v49, v6, v15
	v_dot4c_i32_i8 v62, v7, v12
	v_dot4c_i32_i8 v64, v7, v13
	v_dot4c_i32_i8 v63, v7, v14
	ds_read_b128 v[8:11], v32 offset:22528
	v_dot4c_i32_i8 v61, v7, v15
	v_dot4c_i32_i8 v36, v4, v16
	;; [unrolled: 1-line block ×15, first 2 shown]
	ds_read_b128 v[12:15], v32 offset:22784
	v_dot4c_i32_i8 v58, v7, v18
	v_dot4c_i32_i8 v33, v7, v19
	ds_read_b128 v[4:7], v99 offset:6400
	s_waitcnt lgkmcnt(2)
	v_dot4c_i32_i8 v95, v0, v8
	v_dot4c_i32_i8 v97, v0, v9
	;; [unrolled: 1-line block ×16, first 2 shown]
	s_waitcnt lgkmcnt(1)
	v_dot4c_i32_i8 v90, v0, v12
	v_dot4c_i32_i8 v93, v0, v13
	;; [unrolled: 1-line block ×16, first 2 shown]
	ds_read_b128 v[0:3], v99 offset:6656
	s_waitcnt lgkmcnt(1)
	v_dot4c_i32_i8 v37, v4, v8
	v_dot4c_i32_i8 v40, v4, v9
	;; [unrolled: 1-line block ×15, first 2 shown]
	ds_read_b128 v[16:19], v32 offset:23040
	v_dot4c_i32_i8 v61, v7, v11
	v_dot4c_i32_i8 v36, v4, v12
	;; [unrolled: 1-line block ×15, first 2 shown]
	ds_read_b128 v[8:11], v32 offset:23296
	v_dot4c_i32_i8 v58, v7, v14
	v_dot4c_i32_i8 v33, v7, v15
	ds_read_b128 v[4:7], v99 offset:6912
	s_waitcnt lgkmcnt(2)
	v_dot4c_i32_i8 v95, v0, v16
	v_dot4c_i32_i8 v97, v0, v17
	;; [unrolled: 1-line block ×16, first 2 shown]
	s_waitcnt lgkmcnt(1)
	v_dot4c_i32_i8 v90, v0, v8
	v_dot4c_i32_i8 v93, v0, v9
	v_dot4c_i32_i8 v91, v0, v10
	v_dot4c_i32_i8 v89, v0, v11
	v_dot4c_i32_i8 v84, v1, v8
	v_dot4c_i32_i8 v88, v1, v9
	v_dot4c_i32_i8 v87, v1, v10
	v_dot4c_i32_i8 v83, v1, v11
	v_dot4c_i32_i8 v74, v2, v8
	v_dot4c_i32_i8 v76, v2, v9
	v_dot4c_i32_i8 v75, v2, v10
	v_dot4c_i32_i8 v73, v2, v11
	v_dot4c_i32_i8 v70, v3, v8
	v_dot4c_i32_i8 v72, v3, v9
	v_dot4c_i32_i8 v71, v3, v10
	v_dot4c_i32_i8 v68, v3, v11
	ds_read_b128 v[0:3], v99 offset:7168
	s_waitcnt lgkmcnt(1)
	v_dot4c_i32_i8 v37, v4, v16
	v_dot4c_i32_i8 v40, v4, v17
	;; [unrolled: 1-line block ×15, first 2 shown]
	ds_read_b128 v[12:15], v32 offset:23552
	v_dot4c_i32_i8 v61, v7, v19
	v_dot4c_i32_i8 v36, v4, v8
	;; [unrolled: 1-line block ×15, first 2 shown]
	ds_read_b128 v[16:19], v32 offset:23808
	v_dot4c_i32_i8 v58, v7, v10
	v_dot4c_i32_i8 v33, v7, v11
	ds_read_b128 v[4:7], v99 offset:7424
	s_waitcnt lgkmcnt(2)
	v_dot4c_i32_i8 v95, v0, v12
	v_dot4c_i32_i8 v97, v0, v13
	;; [unrolled: 1-line block ×16, first 2 shown]
	s_waitcnt lgkmcnt(1)
	v_dot4c_i32_i8 v90, v0, v16
	v_dot4c_i32_i8 v93, v0, v17
	;; [unrolled: 1-line block ×16, first 2 shown]
	ds_read_b128 v[0:3], v99 offset:7680
	s_waitcnt lgkmcnt(1)
	v_dot4c_i32_i8 v37, v4, v12
	v_dot4c_i32_i8 v40, v4, v13
	;; [unrolled: 1-line block ×15, first 2 shown]
	ds_read_b128 v[8:11], v32 offset:24064
	v_dot4c_i32_i8 v61, v7, v15
	ds_read_b128 v[12:15], v32 offset:24320
	v_dot4c_i32_i8 v36, v4, v16
	v_dot4c_i32_i8 v43, v4, v17
	;; [unrolled: 1-line block ×16, first 2 shown]
	ds_read_b128 v[4:7], v99 offset:7936
	s_waitcnt lgkmcnt(2)
	v_dot4c_i32_i8 v97, v0, v9
	v_dot4c_i32_i8 v96, v0, v10
	s_waitcnt lgkmcnt(1)
	v_dot4c_i32_i8 v93, v0, v13
	v_dot4c_i32_i8 v91, v0, v14
	;; [unrolled: 1-line block ×6, first 2 shown]
	v_add_nc_u32_e32 v0, s4, v98
	v_dot4c_i32_i8 v82, v1, v8
	v_dot4c_i32_i8 v86, v1, v9
	v_dot4c_i32_i8 v85, v1, v10
	v_dot4c_i32_i8 v81, v1, v11
	v_dot4c_i32_i8 v78, v2, v8
	v_dot4c_i32_i8 v80, v2, v9
	v_dot4c_i32_i8 v79, v2, v10
	v_dot4c_i32_i8 v77, v2, v11
	v_dot4c_i32_i8 v66, v3, v8
	v_dot4c_i32_i8 v69, v3, v9
	v_dot4c_i32_i8 v67, v3, v10
	v_dot4c_i32_i8 v65, v3, v11
	v_dot4c_i32_i8 v84, v1, v12
	v_dot4c_i32_i8 v88, v1, v13
	v_dot4c_i32_i8 v87, v1, v14
	v_dot4c_i32_i8 v83, v1, v15
	v_dot4c_i32_i8 v74, v2, v12
	v_dot4c_i32_i8 v76, v2, v13
	v_dot4c_i32_i8 v75, v2, v14
	v_dot4c_i32_i8 v73, v2, v15
	v_dot4c_i32_i8 v70, v3, v12
	v_dot4c_i32_i8 v72, v3, v13
	v_dot4c_i32_i8 v71, v3, v14
	v_dot4c_i32_i8 v68, v3, v15
	s_waitcnt lgkmcnt(0)
	v_dot4c_i32_i8 v37, v4, v8
	v_dot4c_i32_i8 v40, v4, v9
	;; [unrolled: 1-line block ×8, first 2 shown]
	v_lshlrev_b32_e32 v1, 8, v97
	v_lshlrev_b32_e32 v2, 16, v96
	;; [unrolled: 1-line block ×4, first 2 shown]
	v_mul_lo_u32 v0, v0, s7
	v_dot4c_i32_i8 v47, v5, v8
	v_dot4c_i32_i8 v50, v5, v9
	;; [unrolled: 1-line block ×16, first 2 shown]
	v_and_b32_e32 v1, 0xff00, v1
	v_and_b32_e32 v2, 0xff0000, v2
	v_perm_b32 v5, v92, v95, 0x40c0c00
	v_and_b32_e32 v3, 0xff00, v3
	v_and_b32_e32 v4, 0xff0000, v4
	v_perm_b32 v6, v89, v90, 0x40c0c00
	v_add3_u32 v0, s6, v94, v0
	v_or3_b32 v1, v5, v1, v2
	v_dot4c_i32_i8 v62, v7, v8
	v_dot4c_i32_i8 v64, v7, v9
	v_or3_b32 v2, v6, v3, v4
	v_lshlrev_b32_e32 v3, 8, v88
	v_lshlrev_b32_e32 v4, 16, v87
	buffer_store_dword v1, v0, s[0:3], 0 offen
	buffer_store_dword v2, v0, s[0:3], 0 offen offset:64
	v_dot4c_i32_i8 v63, v7, v10
	v_and_b32_e32 v1, 0xff00, v3
	v_and_b32_e32 v2, 0xff0000, v4
	v_lshlrev_b32_e32 v3, 8, v86
	v_lshlrev_b32_e32 v4, 16, v85
	v_dot4c_i32_i8 v61, v7, v11
	v_dot4c_i32_i8 v52, v7, v12
	;; [unrolled: 1-line block ×5, first 2 shown]
	v_lshlrev_b32_e32 v6, 8, v80
	v_lshlrev_b32_e32 v7, 16, v79
	v_add_nc_u32_e32 v0, s7, v0
	v_perm_b32 v5, v83, v84, 0x40c0c00
	v_and_b32_e32 v3, 0xff00, v3
	v_and_b32_e32 v4, 0xff0000, v4
	v_perm_b32 v8, v81, v82, 0x40c0c00
	v_and_b32_e32 v6, 0xff00, v6
	v_and_b32_e32 v7, 0xff0000, v7
	v_perm_b32 v9, v77, v78, 0x40c0c00
	v_add_nc_u32_e32 v10, 64, v0
	v_or3_b32 v1, v5, v1, v2
	v_or3_b32 v2, v8, v3, v4
	v_add_nc_u32_e32 v3, s7, v0
	v_or3_b32 v4, v9, v6, v7
	v_lshlrev_b32_e32 v5, 8, v76
	buffer_store_dword v1, v10, s[0:3], 0 offen
	buffer_store_dword v2, v0, s[0:3], 0 offen
	v_lshlrev_b32_e32 v0, 16, v75
	v_lshlrev_b32_e32 v2, 8, v72
	buffer_store_dword v4, v3, s[0:3], 0 offen
	v_lshlrev_b32_e32 v4, 16, v71
	v_and_b32_e32 v1, 0xff00, v5
	v_and_b32_e32 v0, 0xff0000, v0
	v_perm_b32 v5, v73, v74, 0x40c0c00
	v_add_nc_u32_e32 v6, 64, v3
	v_and_b32_e32 v2, 0xff00, v2
	v_and_b32_e32 v4, 0xff0000, v4
	v_perm_b32 v7, v68, v70, 0x40c0c00
	v_or3_b32 v0, v5, v1, v0
	v_lshlrev_b32_e32 v1, 8, v69
	v_lshlrev_b32_e32 v5, 16, v67
	v_add_nc_u32_e32 v8, s7, v6
	v_or3_b32 v2, v7, v2, v4
	buffer_store_dword v0, v3, s[0:3], 0 offen offset:64
	v_and_b32_e32 v0, 0xff00, v1
	v_and_b32_e32 v1, 0xff0000, v5
	v_perm_b32 v4, v65, v66, 0x40c0c00
	buffer_store_dword v2, v8, s[0:3], 0 offen
	v_lshlrev_b32_e32 v2, 8, v64
	v_lshlrev_b32_e32 v5, 16, v63
	v_add_nc_u32_e32 v3, s7, v3
	v_or3_b32 v0, v4, v0, v1
	s_lshl_b32 s4, s7, 6
	v_and_b32_e32 v1, 0xff00, v2
	v_and_b32_e32 v2, 0xff0000, v5
	v_perm_b32 v4, v61, v62, 0x40c0c00
	buffer_store_dword v0, v3, s[0:3], 0 offen
	v_add_nc_u32_e32 v0, s4, v3
	v_lshlrev_b32_e32 v3, 8, v60
	v_lshlrev_b32_e32 v5, 16, v58
	v_or3_b32 v1, v4, v1, v2
	v_lshlrev_b32_e32 v2, 8, v59
	v_lshlrev_b32_e32 v4, 16, v57
	v_and_b32_e32 v3, 0xff00, v3
	v_and_b32_e32 v5, 0xff0000, v5
	v_perm_b32 v7, v33, v52, 0x40c0c00
	v_and_b32_e32 v2, 0xff00, v2
	v_and_b32_e32 v4, 0xff0000, v4
	v_perm_b32 v8, v54, v56, 0x40c0c00
	v_lshlrev_b32_e32 v9, 8, v55
	v_lshlrev_b32_e32 v10, 16, v53
	v_or3_b32 v3, v7, v3, v5
	v_add_nc_u32_e32 v5, s4, v6
	v_or3_b32 v2, v8, v2, v4
	v_and_b32_e32 v4, 0xff00, v9
	v_and_b32_e32 v6, 0xff0000, v10
	v_perm_b32 v7, v49, v51, 0x40c0c00
	buffer_store_dword v1, v0, s[0:3], 0 offen
	buffer_store_dword v3, v0, s[0:3], 0 offen offset:64
	v_subrev_nc_u32_e32 v0, 64, v5
	buffer_store_dword v2, v5, s[0:3], 0 offen
	v_lshlrev_b32_e32 v2, 8, v50
	v_lshlrev_b32_e32 v3, 16, v48
	v_or3_b32 v1, v7, v4, v6
	v_lshlrev_b32_e32 v5, 8, v46
	v_lshlrev_b32_e32 v6, 16, v44
	v_subrev_nc_u32_e32 v4, s7, v0
	v_lshlrev_b32_e32 v9, 8, v43
	v_lshlrev_b32_e32 v10, 16, v41
	;; [unrolled: 1-line block ×4, first 2 shown]
	v_and_b32_e32 v2, 0xff00, v2
	v_and_b32_e32 v3, 0xff0000, v3
	v_perm_b32 v7, v45, v47, 0x40c0c00
	v_and_b32_e32 v5, 0xff00, v5
	v_and_b32_e32 v6, 0xff0000, v6
	v_perm_b32 v8, v39, v42, 0x40c0c00
	v_subrev_nc_u32_e32 v11, s7, v4
	v_and_b32_e32 v9, 0xff00, v9
	v_and_b32_e32 v10, 0xff0000, v10
	v_perm_b32 v14, v34, v36, 0x40c0c00
	v_and_b32_e32 v12, 0xff00, v12
	v_and_b32_e32 v13, 0xff0000, v13
	v_perm_b32 v15, v35, v37, 0x40c0c00
	v_or3_b32 v2, v7, v2, v3
	v_or3_b32 v3, v8, v5, v6
	v_add_nc_u32_e32 v5, 64, v11
	v_or3_b32 v6, v14, v9, v10
	v_or3_b32 v7, v15, v12, v13
	buffer_store_dword v1, v0, s[0:3], 0 offen
	buffer_store_dword v2, v4, s[0:3], 0 offen
	buffer_store_dword v3, v4, s[0:3], 0 offen offset:64
	buffer_store_dword v6, v5, s[0:3], 0 offen
	buffer_store_dword v7, v11, s[0:3], 0 offen
	s_endpgm
	.section	.rodata,"a",@progbits
	.p2align	6, 0x0
	.amdhsa_kernel _ZN2ck19kernel_gemm_dl_v1r3INS_28GridwiseGemmDl_km_kn_mn_v1r3ILi256EaiaLNS_25InMemoryDataOperationEnumE0ENS_16TensorDescriptorINS_5TupleIJNS_5EmbedINS4_IJiiEEENS4_IJNS_17integral_constantIiLi1EEEiEEELb0EEENS_7UnMergeINS4_IJiNS7_IiLi4EEEEEELb0EEENS_11PassThroughIiEEEEENS4_IJNS_8SequenceIJLi0EEEENSI_IJLi2EEEENSI_IJLi1EEEEEEENS4_IJNSI_IJLi1ELi2EEEENSI_IJLi3ELi4EEEENSI_IJLi5EEEEEEENSI_IJLi3ELi5ELi4EEEElEENS3_INS4_IJNS5_IS6_NS4_IJiS8_EEELb0EEESE_SG_EEENS4_IJSJ_SL_SK_EEESQ_SR_lEENS3_INS4_IJSU_SG_SG_EEESW_NS4_IJSN_NSI_IJLi3EEEENSI_IJLi4EEEEEEESO_lEELi128ELi128ELi16ELi4ELi4ELi4ELi1ENSI_IJLi8ELi2EEEES13_NSI_IJLi2ELi1ELi4ELi4EEEENSI_IJLi8ELi1ELi32ELi1EEEENSI_IJLi0ELi3ELi1ELi2EEEES16_NSI_IJLi1ELi1ELi4ELi1EEEES16_NSI_IJLi1ELi1ELi4ELi4EEEES14_S15_S16_S16_S17_S16_S18_NSI_IJLi0ELi1ELi2ELi3ELi4ELi5EEEELi5ELi4EEEaaNS3_INS4_IJSA_SE_SG_SG_NSB_INS4_IJiNS7_IiLi128EEEEEELb0EEENSF_ISC_EEEEENS4_IJSJ_SK_SL_SZ_SP_S10_EEENS4_IJSN_SO_SP_NSI_IJLi6EEEENSI_IJLi7ELi8EEEENSI_IJLi9EEEEEEENSI_IJLi6ELi7ELi8ELi9EEEElEENS3_INS4_IJSU_SE_SG_SG_S1D_S1E_EEENS4_IJSJ_SL_SK_SZ_SP_S10_EEES1K_S1L_lEENS3_INS4_IJSU_SG_SG_NSB_INS4_IJiNS7_IiLi2EEENS7_IiLi64EEEEEELb0EEES1T_EEENS4_IJSJ_SL_SK_SZ_S10_EEENS4_IJSN_SZ_S10_NSI_IJLi5ELi6ELi7EEEENSI_IJLi8ELi9ELi10EEEEEEENSI_IJLi5ELi6ELi7ELi8ELi9ELi10EEEElEENS_31BlockToCTileMap_M00_N00_M01_N01ILi128ELi128ES12_Lb0EEELb1ELb0EEEvPKT0_S25_PT1_T2_T3_T4_T5_
		.amdhsa_group_segment_fixed_size 32768
		.amdhsa_private_segment_fixed_size 0
		.amdhsa_kernarg_size 328
		.amdhsa_user_sgpr_count 6
		.amdhsa_user_sgpr_private_segment_buffer 1
		.amdhsa_user_sgpr_dispatch_ptr 0
		.amdhsa_user_sgpr_queue_ptr 0
		.amdhsa_user_sgpr_kernarg_segment_ptr 1
		.amdhsa_user_sgpr_dispatch_id 0
		.amdhsa_user_sgpr_flat_scratch_init 0
		.amdhsa_user_sgpr_private_segment_size 0
		.amdhsa_wavefront_size32 1
		.amdhsa_uses_dynamic_stack 0
		.amdhsa_system_sgpr_private_segment_wavefront_offset 0
		.amdhsa_system_sgpr_workgroup_id_x 1
		.amdhsa_system_sgpr_workgroup_id_y 0
		.amdhsa_system_sgpr_workgroup_id_z 0
		.amdhsa_system_sgpr_workgroup_info 0
		.amdhsa_system_vgpr_workitem_id 0
		.amdhsa_next_free_vgpr 135
		.amdhsa_next_free_sgpr 30
		.amdhsa_reserve_vcc 1
		.amdhsa_reserve_flat_scratch 0
		.amdhsa_float_round_mode_32 0
		.amdhsa_float_round_mode_16_64 0
		.amdhsa_float_denorm_mode_32 3
		.amdhsa_float_denorm_mode_16_64 3
		.amdhsa_dx10_clamp 1
		.amdhsa_ieee_mode 1
		.amdhsa_fp16_overflow 0
		.amdhsa_workgroup_processor_mode 1
		.amdhsa_memory_ordered 1
		.amdhsa_forward_progress 1
		.amdhsa_shared_vgpr_count 0
		.amdhsa_exception_fp_ieee_invalid_op 0
		.amdhsa_exception_fp_denorm_src 0
		.amdhsa_exception_fp_ieee_div_zero 0
		.amdhsa_exception_fp_ieee_overflow 0
		.amdhsa_exception_fp_ieee_underflow 0
		.amdhsa_exception_fp_ieee_inexact 0
		.amdhsa_exception_int_div_zero 0
	.end_amdhsa_kernel
	.section	.text._ZN2ck19kernel_gemm_dl_v1r3INS_28GridwiseGemmDl_km_kn_mn_v1r3ILi256EaiaLNS_25InMemoryDataOperationEnumE0ENS_16TensorDescriptorINS_5TupleIJNS_5EmbedINS4_IJiiEEENS4_IJNS_17integral_constantIiLi1EEEiEEELb0EEENS_7UnMergeINS4_IJiNS7_IiLi4EEEEEELb0EEENS_11PassThroughIiEEEEENS4_IJNS_8SequenceIJLi0EEEENSI_IJLi2EEEENSI_IJLi1EEEEEEENS4_IJNSI_IJLi1ELi2EEEENSI_IJLi3ELi4EEEENSI_IJLi5EEEEEEENSI_IJLi3ELi5ELi4EEEElEENS3_INS4_IJNS5_IS6_NS4_IJiS8_EEELb0EEESE_SG_EEENS4_IJSJ_SL_SK_EEESQ_SR_lEENS3_INS4_IJSU_SG_SG_EEESW_NS4_IJSN_NSI_IJLi3EEEENSI_IJLi4EEEEEEESO_lEELi128ELi128ELi16ELi4ELi4ELi4ELi1ENSI_IJLi8ELi2EEEES13_NSI_IJLi2ELi1ELi4ELi4EEEENSI_IJLi8ELi1ELi32ELi1EEEENSI_IJLi0ELi3ELi1ELi2EEEES16_NSI_IJLi1ELi1ELi4ELi1EEEES16_NSI_IJLi1ELi1ELi4ELi4EEEES14_S15_S16_S16_S17_S16_S18_NSI_IJLi0ELi1ELi2ELi3ELi4ELi5EEEELi5ELi4EEEaaNS3_INS4_IJSA_SE_SG_SG_NSB_INS4_IJiNS7_IiLi128EEEEEELb0EEENSF_ISC_EEEEENS4_IJSJ_SK_SL_SZ_SP_S10_EEENS4_IJSN_SO_SP_NSI_IJLi6EEEENSI_IJLi7ELi8EEEENSI_IJLi9EEEEEEENSI_IJLi6ELi7ELi8ELi9EEEElEENS3_INS4_IJSU_SE_SG_SG_S1D_S1E_EEENS4_IJSJ_SL_SK_SZ_SP_S10_EEES1K_S1L_lEENS3_INS4_IJSU_SG_SG_NSB_INS4_IJiNS7_IiLi2EEENS7_IiLi64EEEEEELb0EEES1T_EEENS4_IJSJ_SL_SK_SZ_S10_EEENS4_IJSN_SZ_S10_NSI_IJLi5ELi6ELi7EEEENSI_IJLi8ELi9ELi10EEEEEEENSI_IJLi5ELi6ELi7ELi8ELi9ELi10EEEElEENS_31BlockToCTileMap_M00_N00_M01_N01ILi128ELi128ES12_Lb0EEELb1ELb0EEEvPKT0_S25_PT1_T2_T3_T4_T5_,"axG",@progbits,_ZN2ck19kernel_gemm_dl_v1r3INS_28GridwiseGemmDl_km_kn_mn_v1r3ILi256EaiaLNS_25InMemoryDataOperationEnumE0ENS_16TensorDescriptorINS_5TupleIJNS_5EmbedINS4_IJiiEEENS4_IJNS_17integral_constantIiLi1EEEiEEELb0EEENS_7UnMergeINS4_IJiNS7_IiLi4EEEEEELb0EEENS_11PassThroughIiEEEEENS4_IJNS_8SequenceIJLi0EEEENSI_IJLi2EEEENSI_IJLi1EEEEEEENS4_IJNSI_IJLi1ELi2EEEENSI_IJLi3ELi4EEEENSI_IJLi5EEEEEEENSI_IJLi3ELi5ELi4EEEElEENS3_INS4_IJNS5_IS6_NS4_IJiS8_EEELb0EEESE_SG_EEENS4_IJSJ_SL_SK_EEESQ_SR_lEENS3_INS4_IJSU_SG_SG_EEESW_NS4_IJSN_NSI_IJLi3EEEENSI_IJLi4EEEEEEESO_lEELi128ELi128ELi16ELi4ELi4ELi4ELi1ENSI_IJLi8ELi2EEEES13_NSI_IJLi2ELi1ELi4ELi4EEEENSI_IJLi8ELi1ELi32ELi1EEEENSI_IJLi0ELi3ELi1ELi2EEEES16_NSI_IJLi1ELi1ELi4ELi1EEEES16_NSI_IJLi1ELi1ELi4ELi4EEEES14_S15_S16_S16_S17_S16_S18_NSI_IJLi0ELi1ELi2ELi3ELi4ELi5EEEELi5ELi4EEEaaNS3_INS4_IJSA_SE_SG_SG_NSB_INS4_IJiNS7_IiLi128EEEEEELb0EEENSF_ISC_EEEEENS4_IJSJ_SK_SL_SZ_SP_S10_EEENS4_IJSN_SO_SP_NSI_IJLi6EEEENSI_IJLi7ELi8EEEENSI_IJLi9EEEEEEENSI_IJLi6ELi7ELi8ELi9EEEElEENS3_INS4_IJSU_SE_SG_SG_S1D_S1E_EEENS4_IJSJ_SL_SK_SZ_SP_S10_EEES1K_S1L_lEENS3_INS4_IJSU_SG_SG_NSB_INS4_IJiNS7_IiLi2EEENS7_IiLi64EEEEEELb0EEES1T_EEENS4_IJSJ_SL_SK_SZ_S10_EEENS4_IJSN_SZ_S10_NSI_IJLi5ELi6ELi7EEEENSI_IJLi8ELi9ELi10EEEEEEENSI_IJLi5ELi6ELi7ELi8ELi9ELi10EEEElEENS_31BlockToCTileMap_M00_N00_M01_N01ILi128ELi128ES12_Lb0EEELb1ELb0EEEvPKT0_S25_PT1_T2_T3_T4_T5_,comdat
.Lfunc_end2:
	.size	_ZN2ck19kernel_gemm_dl_v1r3INS_28GridwiseGemmDl_km_kn_mn_v1r3ILi256EaiaLNS_25InMemoryDataOperationEnumE0ENS_16TensorDescriptorINS_5TupleIJNS_5EmbedINS4_IJiiEEENS4_IJNS_17integral_constantIiLi1EEEiEEELb0EEENS_7UnMergeINS4_IJiNS7_IiLi4EEEEEELb0EEENS_11PassThroughIiEEEEENS4_IJNS_8SequenceIJLi0EEEENSI_IJLi2EEEENSI_IJLi1EEEEEEENS4_IJNSI_IJLi1ELi2EEEENSI_IJLi3ELi4EEEENSI_IJLi5EEEEEEENSI_IJLi3ELi5ELi4EEEElEENS3_INS4_IJNS5_IS6_NS4_IJiS8_EEELb0EEESE_SG_EEENS4_IJSJ_SL_SK_EEESQ_SR_lEENS3_INS4_IJSU_SG_SG_EEESW_NS4_IJSN_NSI_IJLi3EEEENSI_IJLi4EEEEEEESO_lEELi128ELi128ELi16ELi4ELi4ELi4ELi1ENSI_IJLi8ELi2EEEES13_NSI_IJLi2ELi1ELi4ELi4EEEENSI_IJLi8ELi1ELi32ELi1EEEENSI_IJLi0ELi3ELi1ELi2EEEES16_NSI_IJLi1ELi1ELi4ELi1EEEES16_NSI_IJLi1ELi1ELi4ELi4EEEES14_S15_S16_S16_S17_S16_S18_NSI_IJLi0ELi1ELi2ELi3ELi4ELi5EEEELi5ELi4EEEaaNS3_INS4_IJSA_SE_SG_SG_NSB_INS4_IJiNS7_IiLi128EEEEEELb0EEENSF_ISC_EEEEENS4_IJSJ_SK_SL_SZ_SP_S10_EEENS4_IJSN_SO_SP_NSI_IJLi6EEEENSI_IJLi7ELi8EEEENSI_IJLi9EEEEEEENSI_IJLi6ELi7ELi8ELi9EEEElEENS3_INS4_IJSU_SE_SG_SG_S1D_S1E_EEENS4_IJSJ_SL_SK_SZ_SP_S10_EEES1K_S1L_lEENS3_INS4_IJSU_SG_SG_NSB_INS4_IJiNS7_IiLi2EEENS7_IiLi64EEEEEELb0EEES1T_EEENS4_IJSJ_SL_SK_SZ_S10_EEENS4_IJSN_SZ_S10_NSI_IJLi5ELi6ELi7EEEENSI_IJLi8ELi9ELi10EEEEEEENSI_IJLi5ELi6ELi7ELi8ELi9ELi10EEEElEENS_31BlockToCTileMap_M00_N00_M01_N01ILi128ELi128ES12_Lb0EEELb1ELb0EEEvPKT0_S25_PT1_T2_T3_T4_T5_, .Lfunc_end2-_ZN2ck19kernel_gemm_dl_v1r3INS_28GridwiseGemmDl_km_kn_mn_v1r3ILi256EaiaLNS_25InMemoryDataOperationEnumE0ENS_16TensorDescriptorINS_5TupleIJNS_5EmbedINS4_IJiiEEENS4_IJNS_17integral_constantIiLi1EEEiEEELb0EEENS_7UnMergeINS4_IJiNS7_IiLi4EEEEEELb0EEENS_11PassThroughIiEEEEENS4_IJNS_8SequenceIJLi0EEEENSI_IJLi2EEEENSI_IJLi1EEEEEEENS4_IJNSI_IJLi1ELi2EEEENSI_IJLi3ELi4EEEENSI_IJLi5EEEEEEENSI_IJLi3ELi5ELi4EEEElEENS3_INS4_IJNS5_IS6_NS4_IJiS8_EEELb0EEESE_SG_EEENS4_IJSJ_SL_SK_EEESQ_SR_lEENS3_INS4_IJSU_SG_SG_EEESW_NS4_IJSN_NSI_IJLi3EEEENSI_IJLi4EEEEEEESO_lEELi128ELi128ELi16ELi4ELi4ELi4ELi1ENSI_IJLi8ELi2EEEES13_NSI_IJLi2ELi1ELi4ELi4EEEENSI_IJLi8ELi1ELi32ELi1EEEENSI_IJLi0ELi3ELi1ELi2EEEES16_NSI_IJLi1ELi1ELi4ELi1EEEES16_NSI_IJLi1ELi1ELi4ELi4EEEES14_S15_S16_S16_S17_S16_S18_NSI_IJLi0ELi1ELi2ELi3ELi4ELi5EEEELi5ELi4EEEaaNS3_INS4_IJSA_SE_SG_SG_NSB_INS4_IJiNS7_IiLi128EEEEEELb0EEENSF_ISC_EEEEENS4_IJSJ_SK_SL_SZ_SP_S10_EEENS4_IJSN_SO_SP_NSI_IJLi6EEEENSI_IJLi7ELi8EEEENSI_IJLi9EEEEEEENSI_IJLi6ELi7ELi8ELi9EEEElEENS3_INS4_IJSU_SE_SG_SG_S1D_S1E_EEENS4_IJSJ_SL_SK_SZ_SP_S10_EEES1K_S1L_lEENS3_INS4_IJSU_SG_SG_NSB_INS4_IJiNS7_IiLi2EEENS7_IiLi64EEEEEELb0EEES1T_EEENS4_IJSJ_SL_SK_SZ_S10_EEENS4_IJSN_SZ_S10_NSI_IJLi5ELi6ELi7EEEENSI_IJLi8ELi9ELi10EEEEEEENSI_IJLi5ELi6ELi7ELi8ELi9ELi10EEEElEENS_31BlockToCTileMap_M00_N00_M01_N01ILi128ELi128ES12_Lb0EEELb1ELb0EEEvPKT0_S25_PT1_T2_T3_T4_T5_
                                        ; -- End function
	.set _ZN2ck19kernel_gemm_dl_v1r3INS_28GridwiseGemmDl_km_kn_mn_v1r3ILi256EaiaLNS_25InMemoryDataOperationEnumE0ENS_16TensorDescriptorINS_5TupleIJNS_5EmbedINS4_IJiiEEENS4_IJNS_17integral_constantIiLi1EEEiEEELb0EEENS_7UnMergeINS4_IJiNS7_IiLi4EEEEEELb0EEENS_11PassThroughIiEEEEENS4_IJNS_8SequenceIJLi0EEEENSI_IJLi2EEEENSI_IJLi1EEEEEEENS4_IJNSI_IJLi1ELi2EEEENSI_IJLi3ELi4EEEENSI_IJLi5EEEEEEENSI_IJLi3ELi5ELi4EEEElEENS3_INS4_IJNS5_IS6_NS4_IJiS8_EEELb0EEESE_SG_EEENS4_IJSJ_SL_SK_EEESQ_SR_lEENS3_INS4_IJSU_SG_SG_EEESW_NS4_IJSN_NSI_IJLi3EEEENSI_IJLi4EEEEEEESO_lEELi128ELi128ELi16ELi4ELi4ELi4ELi1ENSI_IJLi8ELi2EEEES13_NSI_IJLi2ELi1ELi4ELi4EEEENSI_IJLi8ELi1ELi32ELi1EEEENSI_IJLi0ELi3ELi1ELi2EEEES16_NSI_IJLi1ELi1ELi4ELi1EEEES16_NSI_IJLi1ELi1ELi4ELi4EEEES14_S15_S16_S16_S17_S16_S18_NSI_IJLi0ELi1ELi2ELi3ELi4ELi5EEEELi5ELi4EEEaaNS3_INS4_IJSA_SE_SG_SG_NSB_INS4_IJiNS7_IiLi128EEEEEELb0EEENSF_ISC_EEEEENS4_IJSJ_SK_SL_SZ_SP_S10_EEENS4_IJSN_SO_SP_NSI_IJLi6EEEENSI_IJLi7ELi8EEEENSI_IJLi9EEEEEEENSI_IJLi6ELi7ELi8ELi9EEEElEENS3_INS4_IJSU_SE_SG_SG_S1D_S1E_EEENS4_IJSJ_SL_SK_SZ_SP_S10_EEES1K_S1L_lEENS3_INS4_IJSU_SG_SG_NSB_INS4_IJiNS7_IiLi2EEENS7_IiLi64EEEEEELb0EEES1T_EEENS4_IJSJ_SL_SK_SZ_S10_EEENS4_IJSN_SZ_S10_NSI_IJLi5ELi6ELi7EEEENSI_IJLi8ELi9ELi10EEEEEEENSI_IJLi5ELi6ELi7ELi8ELi9ELi10EEEElEENS_31BlockToCTileMap_M00_N00_M01_N01ILi128ELi128ES12_Lb0EEELb1ELb0EEEvPKT0_S25_PT1_T2_T3_T4_T5_.num_vgpr, 135
	.set _ZN2ck19kernel_gemm_dl_v1r3INS_28GridwiseGemmDl_km_kn_mn_v1r3ILi256EaiaLNS_25InMemoryDataOperationEnumE0ENS_16TensorDescriptorINS_5TupleIJNS_5EmbedINS4_IJiiEEENS4_IJNS_17integral_constantIiLi1EEEiEEELb0EEENS_7UnMergeINS4_IJiNS7_IiLi4EEEEEELb0EEENS_11PassThroughIiEEEEENS4_IJNS_8SequenceIJLi0EEEENSI_IJLi2EEEENSI_IJLi1EEEEEEENS4_IJNSI_IJLi1ELi2EEEENSI_IJLi3ELi4EEEENSI_IJLi5EEEEEEENSI_IJLi3ELi5ELi4EEEElEENS3_INS4_IJNS5_IS6_NS4_IJiS8_EEELb0EEESE_SG_EEENS4_IJSJ_SL_SK_EEESQ_SR_lEENS3_INS4_IJSU_SG_SG_EEESW_NS4_IJSN_NSI_IJLi3EEEENSI_IJLi4EEEEEEESO_lEELi128ELi128ELi16ELi4ELi4ELi4ELi1ENSI_IJLi8ELi2EEEES13_NSI_IJLi2ELi1ELi4ELi4EEEENSI_IJLi8ELi1ELi32ELi1EEEENSI_IJLi0ELi3ELi1ELi2EEEES16_NSI_IJLi1ELi1ELi4ELi1EEEES16_NSI_IJLi1ELi1ELi4ELi4EEEES14_S15_S16_S16_S17_S16_S18_NSI_IJLi0ELi1ELi2ELi3ELi4ELi5EEEELi5ELi4EEEaaNS3_INS4_IJSA_SE_SG_SG_NSB_INS4_IJiNS7_IiLi128EEEEEELb0EEENSF_ISC_EEEEENS4_IJSJ_SK_SL_SZ_SP_S10_EEENS4_IJSN_SO_SP_NSI_IJLi6EEEENSI_IJLi7ELi8EEEENSI_IJLi9EEEEEEENSI_IJLi6ELi7ELi8ELi9EEEElEENS3_INS4_IJSU_SE_SG_SG_S1D_S1E_EEENS4_IJSJ_SL_SK_SZ_SP_S10_EEES1K_S1L_lEENS3_INS4_IJSU_SG_SG_NSB_INS4_IJiNS7_IiLi2EEENS7_IiLi64EEEEEELb0EEES1T_EEENS4_IJSJ_SL_SK_SZ_S10_EEENS4_IJSN_SZ_S10_NSI_IJLi5ELi6ELi7EEEENSI_IJLi8ELi9ELi10EEEEEEENSI_IJLi5ELi6ELi7ELi8ELi9ELi10EEEElEENS_31BlockToCTileMap_M00_N00_M01_N01ILi128ELi128ES12_Lb0EEELb1ELb0EEEvPKT0_S25_PT1_T2_T3_T4_T5_.num_agpr, 0
	.set _ZN2ck19kernel_gemm_dl_v1r3INS_28GridwiseGemmDl_km_kn_mn_v1r3ILi256EaiaLNS_25InMemoryDataOperationEnumE0ENS_16TensorDescriptorINS_5TupleIJNS_5EmbedINS4_IJiiEEENS4_IJNS_17integral_constantIiLi1EEEiEEELb0EEENS_7UnMergeINS4_IJiNS7_IiLi4EEEEEELb0EEENS_11PassThroughIiEEEEENS4_IJNS_8SequenceIJLi0EEEENSI_IJLi2EEEENSI_IJLi1EEEEEEENS4_IJNSI_IJLi1ELi2EEEENSI_IJLi3ELi4EEEENSI_IJLi5EEEEEEENSI_IJLi3ELi5ELi4EEEElEENS3_INS4_IJNS5_IS6_NS4_IJiS8_EEELb0EEESE_SG_EEENS4_IJSJ_SL_SK_EEESQ_SR_lEENS3_INS4_IJSU_SG_SG_EEESW_NS4_IJSN_NSI_IJLi3EEEENSI_IJLi4EEEEEEESO_lEELi128ELi128ELi16ELi4ELi4ELi4ELi1ENSI_IJLi8ELi2EEEES13_NSI_IJLi2ELi1ELi4ELi4EEEENSI_IJLi8ELi1ELi32ELi1EEEENSI_IJLi0ELi3ELi1ELi2EEEES16_NSI_IJLi1ELi1ELi4ELi1EEEES16_NSI_IJLi1ELi1ELi4ELi4EEEES14_S15_S16_S16_S17_S16_S18_NSI_IJLi0ELi1ELi2ELi3ELi4ELi5EEEELi5ELi4EEEaaNS3_INS4_IJSA_SE_SG_SG_NSB_INS4_IJiNS7_IiLi128EEEEEELb0EEENSF_ISC_EEEEENS4_IJSJ_SK_SL_SZ_SP_S10_EEENS4_IJSN_SO_SP_NSI_IJLi6EEEENSI_IJLi7ELi8EEEENSI_IJLi9EEEEEEENSI_IJLi6ELi7ELi8ELi9EEEElEENS3_INS4_IJSU_SE_SG_SG_S1D_S1E_EEENS4_IJSJ_SL_SK_SZ_SP_S10_EEES1K_S1L_lEENS3_INS4_IJSU_SG_SG_NSB_INS4_IJiNS7_IiLi2EEENS7_IiLi64EEEEEELb0EEES1T_EEENS4_IJSJ_SL_SK_SZ_S10_EEENS4_IJSN_SZ_S10_NSI_IJLi5ELi6ELi7EEEENSI_IJLi8ELi9ELi10EEEEEEENSI_IJLi5ELi6ELi7ELi8ELi9ELi10EEEElEENS_31BlockToCTileMap_M00_N00_M01_N01ILi128ELi128ES12_Lb0EEELb1ELb0EEEvPKT0_S25_PT1_T2_T3_T4_T5_.numbered_sgpr, 30
	.set _ZN2ck19kernel_gemm_dl_v1r3INS_28GridwiseGemmDl_km_kn_mn_v1r3ILi256EaiaLNS_25InMemoryDataOperationEnumE0ENS_16TensorDescriptorINS_5TupleIJNS_5EmbedINS4_IJiiEEENS4_IJNS_17integral_constantIiLi1EEEiEEELb0EEENS_7UnMergeINS4_IJiNS7_IiLi4EEEEEELb0EEENS_11PassThroughIiEEEEENS4_IJNS_8SequenceIJLi0EEEENSI_IJLi2EEEENSI_IJLi1EEEEEEENS4_IJNSI_IJLi1ELi2EEEENSI_IJLi3ELi4EEEENSI_IJLi5EEEEEEENSI_IJLi3ELi5ELi4EEEElEENS3_INS4_IJNS5_IS6_NS4_IJiS8_EEELb0EEESE_SG_EEENS4_IJSJ_SL_SK_EEESQ_SR_lEENS3_INS4_IJSU_SG_SG_EEESW_NS4_IJSN_NSI_IJLi3EEEENSI_IJLi4EEEEEEESO_lEELi128ELi128ELi16ELi4ELi4ELi4ELi1ENSI_IJLi8ELi2EEEES13_NSI_IJLi2ELi1ELi4ELi4EEEENSI_IJLi8ELi1ELi32ELi1EEEENSI_IJLi0ELi3ELi1ELi2EEEES16_NSI_IJLi1ELi1ELi4ELi1EEEES16_NSI_IJLi1ELi1ELi4ELi4EEEES14_S15_S16_S16_S17_S16_S18_NSI_IJLi0ELi1ELi2ELi3ELi4ELi5EEEELi5ELi4EEEaaNS3_INS4_IJSA_SE_SG_SG_NSB_INS4_IJiNS7_IiLi128EEEEEELb0EEENSF_ISC_EEEEENS4_IJSJ_SK_SL_SZ_SP_S10_EEENS4_IJSN_SO_SP_NSI_IJLi6EEEENSI_IJLi7ELi8EEEENSI_IJLi9EEEEEEENSI_IJLi6ELi7ELi8ELi9EEEElEENS3_INS4_IJSU_SE_SG_SG_S1D_S1E_EEENS4_IJSJ_SL_SK_SZ_SP_S10_EEES1K_S1L_lEENS3_INS4_IJSU_SG_SG_NSB_INS4_IJiNS7_IiLi2EEENS7_IiLi64EEEEEELb0EEES1T_EEENS4_IJSJ_SL_SK_SZ_S10_EEENS4_IJSN_SZ_S10_NSI_IJLi5ELi6ELi7EEEENSI_IJLi8ELi9ELi10EEEEEEENSI_IJLi5ELi6ELi7ELi8ELi9ELi10EEEElEENS_31BlockToCTileMap_M00_N00_M01_N01ILi128ELi128ES12_Lb0EEELb1ELb0EEEvPKT0_S25_PT1_T2_T3_T4_T5_.num_named_barrier, 0
	.set _ZN2ck19kernel_gemm_dl_v1r3INS_28GridwiseGemmDl_km_kn_mn_v1r3ILi256EaiaLNS_25InMemoryDataOperationEnumE0ENS_16TensorDescriptorINS_5TupleIJNS_5EmbedINS4_IJiiEEENS4_IJNS_17integral_constantIiLi1EEEiEEELb0EEENS_7UnMergeINS4_IJiNS7_IiLi4EEEEEELb0EEENS_11PassThroughIiEEEEENS4_IJNS_8SequenceIJLi0EEEENSI_IJLi2EEEENSI_IJLi1EEEEEEENS4_IJNSI_IJLi1ELi2EEEENSI_IJLi3ELi4EEEENSI_IJLi5EEEEEEENSI_IJLi3ELi5ELi4EEEElEENS3_INS4_IJNS5_IS6_NS4_IJiS8_EEELb0EEESE_SG_EEENS4_IJSJ_SL_SK_EEESQ_SR_lEENS3_INS4_IJSU_SG_SG_EEESW_NS4_IJSN_NSI_IJLi3EEEENSI_IJLi4EEEEEEESO_lEELi128ELi128ELi16ELi4ELi4ELi4ELi1ENSI_IJLi8ELi2EEEES13_NSI_IJLi2ELi1ELi4ELi4EEEENSI_IJLi8ELi1ELi32ELi1EEEENSI_IJLi0ELi3ELi1ELi2EEEES16_NSI_IJLi1ELi1ELi4ELi1EEEES16_NSI_IJLi1ELi1ELi4ELi4EEEES14_S15_S16_S16_S17_S16_S18_NSI_IJLi0ELi1ELi2ELi3ELi4ELi5EEEELi5ELi4EEEaaNS3_INS4_IJSA_SE_SG_SG_NSB_INS4_IJiNS7_IiLi128EEEEEELb0EEENSF_ISC_EEEEENS4_IJSJ_SK_SL_SZ_SP_S10_EEENS4_IJSN_SO_SP_NSI_IJLi6EEEENSI_IJLi7ELi8EEEENSI_IJLi9EEEEEEENSI_IJLi6ELi7ELi8ELi9EEEElEENS3_INS4_IJSU_SE_SG_SG_S1D_S1E_EEENS4_IJSJ_SL_SK_SZ_SP_S10_EEES1K_S1L_lEENS3_INS4_IJSU_SG_SG_NSB_INS4_IJiNS7_IiLi2EEENS7_IiLi64EEEEEELb0EEES1T_EEENS4_IJSJ_SL_SK_SZ_S10_EEENS4_IJSN_SZ_S10_NSI_IJLi5ELi6ELi7EEEENSI_IJLi8ELi9ELi10EEEEEEENSI_IJLi5ELi6ELi7ELi8ELi9ELi10EEEElEENS_31BlockToCTileMap_M00_N00_M01_N01ILi128ELi128ES12_Lb0EEELb1ELb0EEEvPKT0_S25_PT1_T2_T3_T4_T5_.private_seg_size, 0
	.set _ZN2ck19kernel_gemm_dl_v1r3INS_28GridwiseGemmDl_km_kn_mn_v1r3ILi256EaiaLNS_25InMemoryDataOperationEnumE0ENS_16TensorDescriptorINS_5TupleIJNS_5EmbedINS4_IJiiEEENS4_IJNS_17integral_constantIiLi1EEEiEEELb0EEENS_7UnMergeINS4_IJiNS7_IiLi4EEEEEELb0EEENS_11PassThroughIiEEEEENS4_IJNS_8SequenceIJLi0EEEENSI_IJLi2EEEENSI_IJLi1EEEEEEENS4_IJNSI_IJLi1ELi2EEEENSI_IJLi3ELi4EEEENSI_IJLi5EEEEEEENSI_IJLi3ELi5ELi4EEEElEENS3_INS4_IJNS5_IS6_NS4_IJiS8_EEELb0EEESE_SG_EEENS4_IJSJ_SL_SK_EEESQ_SR_lEENS3_INS4_IJSU_SG_SG_EEESW_NS4_IJSN_NSI_IJLi3EEEENSI_IJLi4EEEEEEESO_lEELi128ELi128ELi16ELi4ELi4ELi4ELi1ENSI_IJLi8ELi2EEEES13_NSI_IJLi2ELi1ELi4ELi4EEEENSI_IJLi8ELi1ELi32ELi1EEEENSI_IJLi0ELi3ELi1ELi2EEEES16_NSI_IJLi1ELi1ELi4ELi1EEEES16_NSI_IJLi1ELi1ELi4ELi4EEEES14_S15_S16_S16_S17_S16_S18_NSI_IJLi0ELi1ELi2ELi3ELi4ELi5EEEELi5ELi4EEEaaNS3_INS4_IJSA_SE_SG_SG_NSB_INS4_IJiNS7_IiLi128EEEEEELb0EEENSF_ISC_EEEEENS4_IJSJ_SK_SL_SZ_SP_S10_EEENS4_IJSN_SO_SP_NSI_IJLi6EEEENSI_IJLi7ELi8EEEENSI_IJLi9EEEEEEENSI_IJLi6ELi7ELi8ELi9EEEElEENS3_INS4_IJSU_SE_SG_SG_S1D_S1E_EEENS4_IJSJ_SL_SK_SZ_SP_S10_EEES1K_S1L_lEENS3_INS4_IJSU_SG_SG_NSB_INS4_IJiNS7_IiLi2EEENS7_IiLi64EEEEEELb0EEES1T_EEENS4_IJSJ_SL_SK_SZ_S10_EEENS4_IJSN_SZ_S10_NSI_IJLi5ELi6ELi7EEEENSI_IJLi8ELi9ELi10EEEEEEENSI_IJLi5ELi6ELi7ELi8ELi9ELi10EEEElEENS_31BlockToCTileMap_M00_N00_M01_N01ILi128ELi128ES12_Lb0EEELb1ELb0EEEvPKT0_S25_PT1_T2_T3_T4_T5_.uses_vcc, 1
	.set _ZN2ck19kernel_gemm_dl_v1r3INS_28GridwiseGemmDl_km_kn_mn_v1r3ILi256EaiaLNS_25InMemoryDataOperationEnumE0ENS_16TensorDescriptorINS_5TupleIJNS_5EmbedINS4_IJiiEEENS4_IJNS_17integral_constantIiLi1EEEiEEELb0EEENS_7UnMergeINS4_IJiNS7_IiLi4EEEEEELb0EEENS_11PassThroughIiEEEEENS4_IJNS_8SequenceIJLi0EEEENSI_IJLi2EEEENSI_IJLi1EEEEEEENS4_IJNSI_IJLi1ELi2EEEENSI_IJLi3ELi4EEEENSI_IJLi5EEEEEEENSI_IJLi3ELi5ELi4EEEElEENS3_INS4_IJNS5_IS6_NS4_IJiS8_EEELb0EEESE_SG_EEENS4_IJSJ_SL_SK_EEESQ_SR_lEENS3_INS4_IJSU_SG_SG_EEESW_NS4_IJSN_NSI_IJLi3EEEENSI_IJLi4EEEEEEESO_lEELi128ELi128ELi16ELi4ELi4ELi4ELi1ENSI_IJLi8ELi2EEEES13_NSI_IJLi2ELi1ELi4ELi4EEEENSI_IJLi8ELi1ELi32ELi1EEEENSI_IJLi0ELi3ELi1ELi2EEEES16_NSI_IJLi1ELi1ELi4ELi1EEEES16_NSI_IJLi1ELi1ELi4ELi4EEEES14_S15_S16_S16_S17_S16_S18_NSI_IJLi0ELi1ELi2ELi3ELi4ELi5EEEELi5ELi4EEEaaNS3_INS4_IJSA_SE_SG_SG_NSB_INS4_IJiNS7_IiLi128EEEEEELb0EEENSF_ISC_EEEEENS4_IJSJ_SK_SL_SZ_SP_S10_EEENS4_IJSN_SO_SP_NSI_IJLi6EEEENSI_IJLi7ELi8EEEENSI_IJLi9EEEEEEENSI_IJLi6ELi7ELi8ELi9EEEElEENS3_INS4_IJSU_SE_SG_SG_S1D_S1E_EEENS4_IJSJ_SL_SK_SZ_SP_S10_EEES1K_S1L_lEENS3_INS4_IJSU_SG_SG_NSB_INS4_IJiNS7_IiLi2EEENS7_IiLi64EEEEEELb0EEES1T_EEENS4_IJSJ_SL_SK_SZ_S10_EEENS4_IJSN_SZ_S10_NSI_IJLi5ELi6ELi7EEEENSI_IJLi8ELi9ELi10EEEEEEENSI_IJLi5ELi6ELi7ELi8ELi9ELi10EEEElEENS_31BlockToCTileMap_M00_N00_M01_N01ILi128ELi128ES12_Lb0EEELb1ELb0EEEvPKT0_S25_PT1_T2_T3_T4_T5_.uses_flat_scratch, 0
	.set _ZN2ck19kernel_gemm_dl_v1r3INS_28GridwiseGemmDl_km_kn_mn_v1r3ILi256EaiaLNS_25InMemoryDataOperationEnumE0ENS_16TensorDescriptorINS_5TupleIJNS_5EmbedINS4_IJiiEEENS4_IJNS_17integral_constantIiLi1EEEiEEELb0EEENS_7UnMergeINS4_IJiNS7_IiLi4EEEEEELb0EEENS_11PassThroughIiEEEEENS4_IJNS_8SequenceIJLi0EEEENSI_IJLi2EEEENSI_IJLi1EEEEEEENS4_IJNSI_IJLi1ELi2EEEENSI_IJLi3ELi4EEEENSI_IJLi5EEEEEEENSI_IJLi3ELi5ELi4EEEElEENS3_INS4_IJNS5_IS6_NS4_IJiS8_EEELb0EEESE_SG_EEENS4_IJSJ_SL_SK_EEESQ_SR_lEENS3_INS4_IJSU_SG_SG_EEESW_NS4_IJSN_NSI_IJLi3EEEENSI_IJLi4EEEEEEESO_lEELi128ELi128ELi16ELi4ELi4ELi4ELi1ENSI_IJLi8ELi2EEEES13_NSI_IJLi2ELi1ELi4ELi4EEEENSI_IJLi8ELi1ELi32ELi1EEEENSI_IJLi0ELi3ELi1ELi2EEEES16_NSI_IJLi1ELi1ELi4ELi1EEEES16_NSI_IJLi1ELi1ELi4ELi4EEEES14_S15_S16_S16_S17_S16_S18_NSI_IJLi0ELi1ELi2ELi3ELi4ELi5EEEELi5ELi4EEEaaNS3_INS4_IJSA_SE_SG_SG_NSB_INS4_IJiNS7_IiLi128EEEEEELb0EEENSF_ISC_EEEEENS4_IJSJ_SK_SL_SZ_SP_S10_EEENS4_IJSN_SO_SP_NSI_IJLi6EEEENSI_IJLi7ELi8EEEENSI_IJLi9EEEEEEENSI_IJLi6ELi7ELi8ELi9EEEElEENS3_INS4_IJSU_SE_SG_SG_S1D_S1E_EEENS4_IJSJ_SL_SK_SZ_SP_S10_EEES1K_S1L_lEENS3_INS4_IJSU_SG_SG_NSB_INS4_IJiNS7_IiLi2EEENS7_IiLi64EEEEEELb0EEES1T_EEENS4_IJSJ_SL_SK_SZ_S10_EEENS4_IJSN_SZ_S10_NSI_IJLi5ELi6ELi7EEEENSI_IJLi8ELi9ELi10EEEEEEENSI_IJLi5ELi6ELi7ELi8ELi9ELi10EEEElEENS_31BlockToCTileMap_M00_N00_M01_N01ILi128ELi128ES12_Lb0EEELb1ELb0EEEvPKT0_S25_PT1_T2_T3_T4_T5_.has_dyn_sized_stack, 0
	.set _ZN2ck19kernel_gemm_dl_v1r3INS_28GridwiseGemmDl_km_kn_mn_v1r3ILi256EaiaLNS_25InMemoryDataOperationEnumE0ENS_16TensorDescriptorINS_5TupleIJNS_5EmbedINS4_IJiiEEENS4_IJNS_17integral_constantIiLi1EEEiEEELb0EEENS_7UnMergeINS4_IJiNS7_IiLi4EEEEEELb0EEENS_11PassThroughIiEEEEENS4_IJNS_8SequenceIJLi0EEEENSI_IJLi2EEEENSI_IJLi1EEEEEEENS4_IJNSI_IJLi1ELi2EEEENSI_IJLi3ELi4EEEENSI_IJLi5EEEEEEENSI_IJLi3ELi5ELi4EEEElEENS3_INS4_IJNS5_IS6_NS4_IJiS8_EEELb0EEESE_SG_EEENS4_IJSJ_SL_SK_EEESQ_SR_lEENS3_INS4_IJSU_SG_SG_EEESW_NS4_IJSN_NSI_IJLi3EEEENSI_IJLi4EEEEEEESO_lEELi128ELi128ELi16ELi4ELi4ELi4ELi1ENSI_IJLi8ELi2EEEES13_NSI_IJLi2ELi1ELi4ELi4EEEENSI_IJLi8ELi1ELi32ELi1EEEENSI_IJLi0ELi3ELi1ELi2EEEES16_NSI_IJLi1ELi1ELi4ELi1EEEES16_NSI_IJLi1ELi1ELi4ELi4EEEES14_S15_S16_S16_S17_S16_S18_NSI_IJLi0ELi1ELi2ELi3ELi4ELi5EEEELi5ELi4EEEaaNS3_INS4_IJSA_SE_SG_SG_NSB_INS4_IJiNS7_IiLi128EEEEEELb0EEENSF_ISC_EEEEENS4_IJSJ_SK_SL_SZ_SP_S10_EEENS4_IJSN_SO_SP_NSI_IJLi6EEEENSI_IJLi7ELi8EEEENSI_IJLi9EEEEEEENSI_IJLi6ELi7ELi8ELi9EEEElEENS3_INS4_IJSU_SE_SG_SG_S1D_S1E_EEENS4_IJSJ_SL_SK_SZ_SP_S10_EEES1K_S1L_lEENS3_INS4_IJSU_SG_SG_NSB_INS4_IJiNS7_IiLi2EEENS7_IiLi64EEEEEELb0EEES1T_EEENS4_IJSJ_SL_SK_SZ_S10_EEENS4_IJSN_SZ_S10_NSI_IJLi5ELi6ELi7EEEENSI_IJLi8ELi9ELi10EEEEEEENSI_IJLi5ELi6ELi7ELi8ELi9ELi10EEEElEENS_31BlockToCTileMap_M00_N00_M01_N01ILi128ELi128ES12_Lb0EEELb1ELb0EEEvPKT0_S25_PT1_T2_T3_T4_T5_.has_recursion, 0
	.set _ZN2ck19kernel_gemm_dl_v1r3INS_28GridwiseGemmDl_km_kn_mn_v1r3ILi256EaiaLNS_25InMemoryDataOperationEnumE0ENS_16TensorDescriptorINS_5TupleIJNS_5EmbedINS4_IJiiEEENS4_IJNS_17integral_constantIiLi1EEEiEEELb0EEENS_7UnMergeINS4_IJiNS7_IiLi4EEEEEELb0EEENS_11PassThroughIiEEEEENS4_IJNS_8SequenceIJLi0EEEENSI_IJLi2EEEENSI_IJLi1EEEEEEENS4_IJNSI_IJLi1ELi2EEEENSI_IJLi3ELi4EEEENSI_IJLi5EEEEEEENSI_IJLi3ELi5ELi4EEEElEENS3_INS4_IJNS5_IS6_NS4_IJiS8_EEELb0EEESE_SG_EEENS4_IJSJ_SL_SK_EEESQ_SR_lEENS3_INS4_IJSU_SG_SG_EEESW_NS4_IJSN_NSI_IJLi3EEEENSI_IJLi4EEEEEEESO_lEELi128ELi128ELi16ELi4ELi4ELi4ELi1ENSI_IJLi8ELi2EEEES13_NSI_IJLi2ELi1ELi4ELi4EEEENSI_IJLi8ELi1ELi32ELi1EEEENSI_IJLi0ELi3ELi1ELi2EEEES16_NSI_IJLi1ELi1ELi4ELi1EEEES16_NSI_IJLi1ELi1ELi4ELi4EEEES14_S15_S16_S16_S17_S16_S18_NSI_IJLi0ELi1ELi2ELi3ELi4ELi5EEEELi5ELi4EEEaaNS3_INS4_IJSA_SE_SG_SG_NSB_INS4_IJiNS7_IiLi128EEEEEELb0EEENSF_ISC_EEEEENS4_IJSJ_SK_SL_SZ_SP_S10_EEENS4_IJSN_SO_SP_NSI_IJLi6EEEENSI_IJLi7ELi8EEEENSI_IJLi9EEEEEEENSI_IJLi6ELi7ELi8ELi9EEEElEENS3_INS4_IJSU_SE_SG_SG_S1D_S1E_EEENS4_IJSJ_SL_SK_SZ_SP_S10_EEES1K_S1L_lEENS3_INS4_IJSU_SG_SG_NSB_INS4_IJiNS7_IiLi2EEENS7_IiLi64EEEEEELb0EEES1T_EEENS4_IJSJ_SL_SK_SZ_S10_EEENS4_IJSN_SZ_S10_NSI_IJLi5ELi6ELi7EEEENSI_IJLi8ELi9ELi10EEEEEEENSI_IJLi5ELi6ELi7ELi8ELi9ELi10EEEElEENS_31BlockToCTileMap_M00_N00_M01_N01ILi128ELi128ES12_Lb0EEELb1ELb0EEEvPKT0_S25_PT1_T2_T3_T4_T5_.has_indirect_call, 0
	.section	.AMDGPU.csdata,"",@progbits
; Kernel info:
; codeLenInByte = 18888
; TotalNumSgprs: 32
; NumVgprs: 135
; ScratchSize: 0
; MemoryBound: 0
; FloatMode: 240
; IeeeMode: 1
; LDSByteSize: 32768 bytes/workgroup (compile time only)
; SGPRBlocks: 0
; VGPRBlocks: 16
; NumSGPRsForWavesPerEU: 32
; NumVGPRsForWavesPerEU: 135
; Occupancy: 7
; WaveLimiterHint : 0
; COMPUTE_PGM_RSRC2:SCRATCH_EN: 0
; COMPUTE_PGM_RSRC2:USER_SGPR: 6
; COMPUTE_PGM_RSRC2:TRAP_HANDLER: 0
; COMPUTE_PGM_RSRC2:TGID_X_EN: 1
; COMPUTE_PGM_RSRC2:TGID_Y_EN: 0
; COMPUTE_PGM_RSRC2:TGID_Z_EN: 0
; COMPUTE_PGM_RSRC2:TIDIG_COMP_CNT: 0
	.section	.text._ZN2ck19kernel_gemm_dl_v1r3INS_28GridwiseGemmDl_km_kn_mn_v1r3ILi256EaiaLNS_25InMemoryDataOperationEnumE0ENS_16TensorDescriptorINS_5TupleIJNS_5EmbedINS4_IJiiEEENS4_IJNS_17integral_constantIiLi1EEEiEEELb0EEENS_7UnMergeINS4_IJiNS7_IiLi4EEEEEELb0EEENS_11PassThroughIiEEEEENS4_IJNS_8SequenceIJLi0EEEENSI_IJLi2EEEENSI_IJLi1EEEEEEENS4_IJNSI_IJLi1ELi2EEEENSI_IJLi3ELi4EEEENSI_IJLi5EEEEEEENSI_IJLi3ELi5ELi4EEEElEENS3_INS4_IJNS5_IS6_NS4_IJiS8_EEELb0EEESE_SG_EEENS4_IJSJ_SL_SK_EEESQ_SR_lEENS3_INS4_IJSU_SG_SG_EEESW_NS4_IJSN_NSI_IJLi3EEEENSI_IJLi4EEEEEEESO_lEELi128ELi128ELi16ELi4ELi4ELi4ELi1ENSI_IJLi8ELi2EEEES13_NSI_IJLi2ELi1ELi4ELi4EEEENSI_IJLi8ELi1ELi32ELi1EEEENSI_IJLi0ELi3ELi1ELi2EEEES16_NSI_IJLi1ELi1ELi4ELi1EEEES16_NSI_IJLi1ELi1ELi4ELi4EEEES14_S15_S16_S16_S17_S16_S18_NSI_IJLi0ELi1ELi2ELi3ELi4ELi5EEEELi5ELi4EEEaaNS3_INS4_IJSA_SE_SG_SG_NSB_INS4_IJiNS7_IiLi128EEEEEELb0EEENSF_ISC_EEEEENS4_IJSJ_SK_SL_SZ_SP_S10_EEENS4_IJSN_SO_SP_NSI_IJLi6EEEENSI_IJLi7ELi8EEEENSI_IJLi9EEEEEEENSI_IJLi6ELi7ELi8ELi9EEEElEENS3_INS4_IJSU_SE_SG_SG_S1D_S1E_EEENS4_IJSJ_SL_SK_SZ_SP_S10_EEES1K_S1L_lEENS3_INS4_IJSU_SG_SG_NSB_INS4_IJiNS7_IiLi2EEENS7_IiLi64EEEEEELb0EEES1T_EEENS4_IJSJ_SL_SK_SZ_S10_EEENS4_IJSN_SZ_S10_NSI_IJLi5ELi6ELi7EEEENSI_IJLi8ELi9ELi10EEEEEEENSI_IJLi5ELi6ELi7ELi8ELi9ELi10EEEElEENS_31BlockToCTileMap_M00_N00_M01_N01ILi128ELi128ES12_Lb0EEELb0ELb1EEEvPKT0_S25_PT1_T2_T3_T4_T5_,"axG",@progbits,_ZN2ck19kernel_gemm_dl_v1r3INS_28GridwiseGemmDl_km_kn_mn_v1r3ILi256EaiaLNS_25InMemoryDataOperationEnumE0ENS_16TensorDescriptorINS_5TupleIJNS_5EmbedINS4_IJiiEEENS4_IJNS_17integral_constantIiLi1EEEiEEELb0EEENS_7UnMergeINS4_IJiNS7_IiLi4EEEEEELb0EEENS_11PassThroughIiEEEEENS4_IJNS_8SequenceIJLi0EEEENSI_IJLi2EEEENSI_IJLi1EEEEEEENS4_IJNSI_IJLi1ELi2EEEENSI_IJLi3ELi4EEEENSI_IJLi5EEEEEEENSI_IJLi3ELi5ELi4EEEElEENS3_INS4_IJNS5_IS6_NS4_IJiS8_EEELb0EEESE_SG_EEENS4_IJSJ_SL_SK_EEESQ_SR_lEENS3_INS4_IJSU_SG_SG_EEESW_NS4_IJSN_NSI_IJLi3EEEENSI_IJLi4EEEEEEESO_lEELi128ELi128ELi16ELi4ELi4ELi4ELi1ENSI_IJLi8ELi2EEEES13_NSI_IJLi2ELi1ELi4ELi4EEEENSI_IJLi8ELi1ELi32ELi1EEEENSI_IJLi0ELi3ELi1ELi2EEEES16_NSI_IJLi1ELi1ELi4ELi1EEEES16_NSI_IJLi1ELi1ELi4ELi4EEEES14_S15_S16_S16_S17_S16_S18_NSI_IJLi0ELi1ELi2ELi3ELi4ELi5EEEELi5ELi4EEEaaNS3_INS4_IJSA_SE_SG_SG_NSB_INS4_IJiNS7_IiLi128EEEEEELb0EEENSF_ISC_EEEEENS4_IJSJ_SK_SL_SZ_SP_S10_EEENS4_IJSN_SO_SP_NSI_IJLi6EEEENSI_IJLi7ELi8EEEENSI_IJLi9EEEEEEENSI_IJLi6ELi7ELi8ELi9EEEElEENS3_INS4_IJSU_SE_SG_SG_S1D_S1E_EEENS4_IJSJ_SL_SK_SZ_SP_S10_EEES1K_S1L_lEENS3_INS4_IJSU_SG_SG_NSB_INS4_IJiNS7_IiLi2EEENS7_IiLi64EEEEEELb0EEES1T_EEENS4_IJSJ_SL_SK_SZ_S10_EEENS4_IJSN_SZ_S10_NSI_IJLi5ELi6ELi7EEEENSI_IJLi8ELi9ELi10EEEEEEENSI_IJLi5ELi6ELi7ELi8ELi9ELi10EEEElEENS_31BlockToCTileMap_M00_N00_M01_N01ILi128ELi128ES12_Lb0EEELb0ELb1EEEvPKT0_S25_PT1_T2_T3_T4_T5_,comdat
	.protected	_ZN2ck19kernel_gemm_dl_v1r3INS_28GridwiseGemmDl_km_kn_mn_v1r3ILi256EaiaLNS_25InMemoryDataOperationEnumE0ENS_16TensorDescriptorINS_5TupleIJNS_5EmbedINS4_IJiiEEENS4_IJNS_17integral_constantIiLi1EEEiEEELb0EEENS_7UnMergeINS4_IJiNS7_IiLi4EEEEEELb0EEENS_11PassThroughIiEEEEENS4_IJNS_8SequenceIJLi0EEEENSI_IJLi2EEEENSI_IJLi1EEEEEEENS4_IJNSI_IJLi1ELi2EEEENSI_IJLi3ELi4EEEENSI_IJLi5EEEEEEENSI_IJLi3ELi5ELi4EEEElEENS3_INS4_IJNS5_IS6_NS4_IJiS8_EEELb0EEESE_SG_EEENS4_IJSJ_SL_SK_EEESQ_SR_lEENS3_INS4_IJSU_SG_SG_EEESW_NS4_IJSN_NSI_IJLi3EEEENSI_IJLi4EEEEEEESO_lEELi128ELi128ELi16ELi4ELi4ELi4ELi1ENSI_IJLi8ELi2EEEES13_NSI_IJLi2ELi1ELi4ELi4EEEENSI_IJLi8ELi1ELi32ELi1EEEENSI_IJLi0ELi3ELi1ELi2EEEES16_NSI_IJLi1ELi1ELi4ELi1EEEES16_NSI_IJLi1ELi1ELi4ELi4EEEES14_S15_S16_S16_S17_S16_S18_NSI_IJLi0ELi1ELi2ELi3ELi4ELi5EEEELi5ELi4EEEaaNS3_INS4_IJSA_SE_SG_SG_NSB_INS4_IJiNS7_IiLi128EEEEEELb0EEENSF_ISC_EEEEENS4_IJSJ_SK_SL_SZ_SP_S10_EEENS4_IJSN_SO_SP_NSI_IJLi6EEEENSI_IJLi7ELi8EEEENSI_IJLi9EEEEEEENSI_IJLi6ELi7ELi8ELi9EEEElEENS3_INS4_IJSU_SE_SG_SG_S1D_S1E_EEENS4_IJSJ_SL_SK_SZ_SP_S10_EEES1K_S1L_lEENS3_INS4_IJSU_SG_SG_NSB_INS4_IJiNS7_IiLi2EEENS7_IiLi64EEEEEELb0EEES1T_EEENS4_IJSJ_SL_SK_SZ_S10_EEENS4_IJSN_SZ_S10_NSI_IJLi5ELi6ELi7EEEENSI_IJLi8ELi9ELi10EEEEEEENSI_IJLi5ELi6ELi7ELi8ELi9ELi10EEEElEENS_31BlockToCTileMap_M00_N00_M01_N01ILi128ELi128ES12_Lb0EEELb0ELb1EEEvPKT0_S25_PT1_T2_T3_T4_T5_ ; -- Begin function _ZN2ck19kernel_gemm_dl_v1r3INS_28GridwiseGemmDl_km_kn_mn_v1r3ILi256EaiaLNS_25InMemoryDataOperationEnumE0ENS_16TensorDescriptorINS_5TupleIJNS_5EmbedINS4_IJiiEEENS4_IJNS_17integral_constantIiLi1EEEiEEELb0EEENS_7UnMergeINS4_IJiNS7_IiLi4EEEEEELb0EEENS_11PassThroughIiEEEEENS4_IJNS_8SequenceIJLi0EEEENSI_IJLi2EEEENSI_IJLi1EEEEEEENS4_IJNSI_IJLi1ELi2EEEENSI_IJLi3ELi4EEEENSI_IJLi5EEEEEEENSI_IJLi3ELi5ELi4EEEElEENS3_INS4_IJNS5_IS6_NS4_IJiS8_EEELb0EEESE_SG_EEENS4_IJSJ_SL_SK_EEESQ_SR_lEENS3_INS4_IJSU_SG_SG_EEESW_NS4_IJSN_NSI_IJLi3EEEENSI_IJLi4EEEEEEESO_lEELi128ELi128ELi16ELi4ELi4ELi4ELi1ENSI_IJLi8ELi2EEEES13_NSI_IJLi2ELi1ELi4ELi4EEEENSI_IJLi8ELi1ELi32ELi1EEEENSI_IJLi0ELi3ELi1ELi2EEEES16_NSI_IJLi1ELi1ELi4ELi1EEEES16_NSI_IJLi1ELi1ELi4ELi4EEEES14_S15_S16_S16_S17_S16_S18_NSI_IJLi0ELi1ELi2ELi3ELi4ELi5EEEELi5ELi4EEEaaNS3_INS4_IJSA_SE_SG_SG_NSB_INS4_IJiNS7_IiLi128EEEEEELb0EEENSF_ISC_EEEEENS4_IJSJ_SK_SL_SZ_SP_S10_EEENS4_IJSN_SO_SP_NSI_IJLi6EEEENSI_IJLi7ELi8EEEENSI_IJLi9EEEEEEENSI_IJLi6ELi7ELi8ELi9EEEElEENS3_INS4_IJSU_SE_SG_SG_S1D_S1E_EEENS4_IJSJ_SL_SK_SZ_SP_S10_EEES1K_S1L_lEENS3_INS4_IJSU_SG_SG_NSB_INS4_IJiNS7_IiLi2EEENS7_IiLi64EEEEEELb0EEES1T_EEENS4_IJSJ_SL_SK_SZ_S10_EEENS4_IJSN_SZ_S10_NSI_IJLi5ELi6ELi7EEEENSI_IJLi8ELi9ELi10EEEEEEENSI_IJLi5ELi6ELi7ELi8ELi9ELi10EEEElEENS_31BlockToCTileMap_M00_N00_M01_N01ILi128ELi128ES12_Lb0EEELb0ELb1EEEvPKT0_S25_PT1_T2_T3_T4_T5_
	.globl	_ZN2ck19kernel_gemm_dl_v1r3INS_28GridwiseGemmDl_km_kn_mn_v1r3ILi256EaiaLNS_25InMemoryDataOperationEnumE0ENS_16TensorDescriptorINS_5TupleIJNS_5EmbedINS4_IJiiEEENS4_IJNS_17integral_constantIiLi1EEEiEEELb0EEENS_7UnMergeINS4_IJiNS7_IiLi4EEEEEELb0EEENS_11PassThroughIiEEEEENS4_IJNS_8SequenceIJLi0EEEENSI_IJLi2EEEENSI_IJLi1EEEEEEENS4_IJNSI_IJLi1ELi2EEEENSI_IJLi3ELi4EEEENSI_IJLi5EEEEEEENSI_IJLi3ELi5ELi4EEEElEENS3_INS4_IJNS5_IS6_NS4_IJiS8_EEELb0EEESE_SG_EEENS4_IJSJ_SL_SK_EEESQ_SR_lEENS3_INS4_IJSU_SG_SG_EEESW_NS4_IJSN_NSI_IJLi3EEEENSI_IJLi4EEEEEEESO_lEELi128ELi128ELi16ELi4ELi4ELi4ELi1ENSI_IJLi8ELi2EEEES13_NSI_IJLi2ELi1ELi4ELi4EEEENSI_IJLi8ELi1ELi32ELi1EEEENSI_IJLi0ELi3ELi1ELi2EEEES16_NSI_IJLi1ELi1ELi4ELi1EEEES16_NSI_IJLi1ELi1ELi4ELi4EEEES14_S15_S16_S16_S17_S16_S18_NSI_IJLi0ELi1ELi2ELi3ELi4ELi5EEEELi5ELi4EEEaaNS3_INS4_IJSA_SE_SG_SG_NSB_INS4_IJiNS7_IiLi128EEEEEELb0EEENSF_ISC_EEEEENS4_IJSJ_SK_SL_SZ_SP_S10_EEENS4_IJSN_SO_SP_NSI_IJLi6EEEENSI_IJLi7ELi8EEEENSI_IJLi9EEEEEEENSI_IJLi6ELi7ELi8ELi9EEEElEENS3_INS4_IJSU_SE_SG_SG_S1D_S1E_EEENS4_IJSJ_SL_SK_SZ_SP_S10_EEES1K_S1L_lEENS3_INS4_IJSU_SG_SG_NSB_INS4_IJiNS7_IiLi2EEENS7_IiLi64EEEEEELb0EEES1T_EEENS4_IJSJ_SL_SK_SZ_S10_EEENS4_IJSN_SZ_S10_NSI_IJLi5ELi6ELi7EEEENSI_IJLi8ELi9ELi10EEEEEEENSI_IJLi5ELi6ELi7ELi8ELi9ELi10EEEElEENS_31BlockToCTileMap_M00_N00_M01_N01ILi128ELi128ES12_Lb0EEELb0ELb1EEEvPKT0_S25_PT1_T2_T3_T4_T5_
	.p2align	8
	.type	_ZN2ck19kernel_gemm_dl_v1r3INS_28GridwiseGemmDl_km_kn_mn_v1r3ILi256EaiaLNS_25InMemoryDataOperationEnumE0ENS_16TensorDescriptorINS_5TupleIJNS_5EmbedINS4_IJiiEEENS4_IJNS_17integral_constantIiLi1EEEiEEELb0EEENS_7UnMergeINS4_IJiNS7_IiLi4EEEEEELb0EEENS_11PassThroughIiEEEEENS4_IJNS_8SequenceIJLi0EEEENSI_IJLi2EEEENSI_IJLi1EEEEEEENS4_IJNSI_IJLi1ELi2EEEENSI_IJLi3ELi4EEEENSI_IJLi5EEEEEEENSI_IJLi3ELi5ELi4EEEElEENS3_INS4_IJNS5_IS6_NS4_IJiS8_EEELb0EEESE_SG_EEENS4_IJSJ_SL_SK_EEESQ_SR_lEENS3_INS4_IJSU_SG_SG_EEESW_NS4_IJSN_NSI_IJLi3EEEENSI_IJLi4EEEEEEESO_lEELi128ELi128ELi16ELi4ELi4ELi4ELi1ENSI_IJLi8ELi2EEEES13_NSI_IJLi2ELi1ELi4ELi4EEEENSI_IJLi8ELi1ELi32ELi1EEEENSI_IJLi0ELi3ELi1ELi2EEEES16_NSI_IJLi1ELi1ELi4ELi1EEEES16_NSI_IJLi1ELi1ELi4ELi4EEEES14_S15_S16_S16_S17_S16_S18_NSI_IJLi0ELi1ELi2ELi3ELi4ELi5EEEELi5ELi4EEEaaNS3_INS4_IJSA_SE_SG_SG_NSB_INS4_IJiNS7_IiLi128EEEEEELb0EEENSF_ISC_EEEEENS4_IJSJ_SK_SL_SZ_SP_S10_EEENS4_IJSN_SO_SP_NSI_IJLi6EEEENSI_IJLi7ELi8EEEENSI_IJLi9EEEEEEENSI_IJLi6ELi7ELi8ELi9EEEElEENS3_INS4_IJSU_SE_SG_SG_S1D_S1E_EEENS4_IJSJ_SL_SK_SZ_SP_S10_EEES1K_S1L_lEENS3_INS4_IJSU_SG_SG_NSB_INS4_IJiNS7_IiLi2EEENS7_IiLi64EEEEEELb0EEES1T_EEENS4_IJSJ_SL_SK_SZ_S10_EEENS4_IJSN_SZ_S10_NSI_IJLi5ELi6ELi7EEEENSI_IJLi8ELi9ELi10EEEEEEENSI_IJLi5ELi6ELi7ELi8ELi9ELi10EEEElEENS_31BlockToCTileMap_M00_N00_M01_N01ILi128ELi128ES12_Lb0EEELb0ELb1EEEvPKT0_S25_PT1_T2_T3_T4_T5_,@function
_ZN2ck19kernel_gemm_dl_v1r3INS_28GridwiseGemmDl_km_kn_mn_v1r3ILi256EaiaLNS_25InMemoryDataOperationEnumE0ENS_16TensorDescriptorINS_5TupleIJNS_5EmbedINS4_IJiiEEENS4_IJNS_17integral_constantIiLi1EEEiEEELb0EEENS_7UnMergeINS4_IJiNS7_IiLi4EEEEEELb0EEENS_11PassThroughIiEEEEENS4_IJNS_8SequenceIJLi0EEEENSI_IJLi2EEEENSI_IJLi1EEEEEEENS4_IJNSI_IJLi1ELi2EEEENSI_IJLi3ELi4EEEENSI_IJLi5EEEEEEENSI_IJLi3ELi5ELi4EEEElEENS3_INS4_IJNS5_IS6_NS4_IJiS8_EEELb0EEESE_SG_EEENS4_IJSJ_SL_SK_EEESQ_SR_lEENS3_INS4_IJSU_SG_SG_EEESW_NS4_IJSN_NSI_IJLi3EEEENSI_IJLi4EEEEEEESO_lEELi128ELi128ELi16ELi4ELi4ELi4ELi1ENSI_IJLi8ELi2EEEES13_NSI_IJLi2ELi1ELi4ELi4EEEENSI_IJLi8ELi1ELi32ELi1EEEENSI_IJLi0ELi3ELi1ELi2EEEES16_NSI_IJLi1ELi1ELi4ELi1EEEES16_NSI_IJLi1ELi1ELi4ELi4EEEES14_S15_S16_S16_S17_S16_S18_NSI_IJLi0ELi1ELi2ELi3ELi4ELi5EEEELi5ELi4EEEaaNS3_INS4_IJSA_SE_SG_SG_NSB_INS4_IJiNS7_IiLi128EEEEEELb0EEENSF_ISC_EEEEENS4_IJSJ_SK_SL_SZ_SP_S10_EEENS4_IJSN_SO_SP_NSI_IJLi6EEEENSI_IJLi7ELi8EEEENSI_IJLi9EEEEEEENSI_IJLi6ELi7ELi8ELi9EEEElEENS3_INS4_IJSU_SE_SG_SG_S1D_S1E_EEENS4_IJSJ_SL_SK_SZ_SP_S10_EEES1K_S1L_lEENS3_INS4_IJSU_SG_SG_NSB_INS4_IJiNS7_IiLi2EEENS7_IiLi64EEEEEELb0EEES1T_EEENS4_IJSJ_SL_SK_SZ_S10_EEENS4_IJSN_SZ_S10_NSI_IJLi5ELi6ELi7EEEENSI_IJLi8ELi9ELi10EEEEEEENSI_IJLi5ELi6ELi7ELi8ELi9ELi10EEEElEENS_31BlockToCTileMap_M00_N00_M01_N01ILi128ELi128ES12_Lb0EEELb0ELb1EEEvPKT0_S25_PT1_T2_T3_T4_T5_: ; @_ZN2ck19kernel_gemm_dl_v1r3INS_28GridwiseGemmDl_km_kn_mn_v1r3ILi256EaiaLNS_25InMemoryDataOperationEnumE0ENS_16TensorDescriptorINS_5TupleIJNS_5EmbedINS4_IJiiEEENS4_IJNS_17integral_constantIiLi1EEEiEEELb0EEENS_7UnMergeINS4_IJiNS7_IiLi4EEEEEELb0EEENS_11PassThroughIiEEEEENS4_IJNS_8SequenceIJLi0EEEENSI_IJLi2EEEENSI_IJLi1EEEEEEENS4_IJNSI_IJLi1ELi2EEEENSI_IJLi3ELi4EEEENSI_IJLi5EEEEEEENSI_IJLi3ELi5ELi4EEEElEENS3_INS4_IJNS5_IS6_NS4_IJiS8_EEELb0EEESE_SG_EEENS4_IJSJ_SL_SK_EEESQ_SR_lEENS3_INS4_IJSU_SG_SG_EEESW_NS4_IJSN_NSI_IJLi3EEEENSI_IJLi4EEEEEEESO_lEELi128ELi128ELi16ELi4ELi4ELi4ELi1ENSI_IJLi8ELi2EEEES13_NSI_IJLi2ELi1ELi4ELi4EEEENSI_IJLi8ELi1ELi32ELi1EEEENSI_IJLi0ELi3ELi1ELi2EEEES16_NSI_IJLi1ELi1ELi4ELi1EEEES16_NSI_IJLi1ELi1ELi4ELi4EEEES14_S15_S16_S16_S17_S16_S18_NSI_IJLi0ELi1ELi2ELi3ELi4ELi5EEEELi5ELi4EEEaaNS3_INS4_IJSA_SE_SG_SG_NSB_INS4_IJiNS7_IiLi128EEEEEELb0EEENSF_ISC_EEEEENS4_IJSJ_SK_SL_SZ_SP_S10_EEENS4_IJSN_SO_SP_NSI_IJLi6EEEENSI_IJLi7ELi8EEEENSI_IJLi9EEEEEEENSI_IJLi6ELi7ELi8ELi9EEEElEENS3_INS4_IJSU_SE_SG_SG_S1D_S1E_EEENS4_IJSJ_SL_SK_SZ_SP_S10_EEES1K_S1L_lEENS3_INS4_IJSU_SG_SG_NSB_INS4_IJiNS7_IiLi2EEENS7_IiLi64EEEEEELb0EEES1T_EEENS4_IJSJ_SL_SK_SZ_S10_EEENS4_IJSN_SZ_S10_NSI_IJLi5ELi6ELi7EEEENSI_IJLi8ELi9ELi10EEEEEEENSI_IJLi5ELi6ELi7ELi8ELi9ELi10EEEElEENS_31BlockToCTileMap_M00_N00_M01_N01ILi128ELi128ES12_Lb0EEELb0ELb1EEEvPKT0_S25_PT1_T2_T3_T4_T5_
; %bb.0:
	s_clause 0xa
	s_load_dwordx4 s[20:23], s[4:5], 0x11c
	s_load_dwordx4 s[16:19], s[4:5], 0x130
	s_load_dword s33, s[4:5], 0x24
	s_load_dword s34, s[4:5], 0x60
	s_load_dwordx4 s[28:31], s[4:5], 0x108
	s_load_dword s10, s[4:5], 0x50
	s_load_dword s14, s[4:5], 0x90
	;; [unrolled: 1-line block ×6, first 2 shown]
	v_lshrrev_b32_e32 v1, 4, v0
	v_lshlrev_b32_e32 v64, 2, v0
	s_load_dwordx4 s[24:27], s[4:5], 0x0
	s_mov_b32 s11, 0x31014000
	v_lshrrev_b32_e32 v60, 5, v0
	v_and_b32_e32 v66, 14, v1
	v_and_b32_e32 v65, 0x7c, v64
	s_mov_b32 s15, s11
	v_lshlrev_b32_e32 v91, 1, v0
	v_lshlrev_b32_e32 v92, 6, v60
	;; [unrolled: 1-line block ×4, first 2 shown]
	v_mov_b32_e32 v43, 0
	v_and_b32_e32 v93, 0x1f8, v91
	v_mov_b32_e32 v54, 0
	v_mov_b32_e32 v55, 0
	s_waitcnt lgkmcnt(0)
	s_mul_hi_u32 s0, s23, s6
	v_mul_lo_u32 v2, s33, v1
	s_add_i32 s0, s6, s0
	v_mul_lo_u32 v1, s34, v1
	s_lshr_b32 s0, s0, s19
	v_sub_nc_u32_e32 v92, v93, v92
	s_mul_hi_u32 s8, s0, s22
	s_mul_i32 s9, s0, s31
	s_add_i32 s8, s0, s8
	s_sub_i32 s6, s6, s9
	s_lshr_b32 s8, s8, s18
	v_and_or_b32 v64, v64, 4, v92
	s_mul_hi_u32 s12, s8, s21
	v_mov_b32_e32 v47, 0
	s_add_i32 s9, s8, s12
	s_mul_i32 s12, s8, s30
	s_lshr_b32 s9, s9, s17
	s_sub_i32 s12, s0, s12
	s_mul_hi_u32 s0, s9, s20
	s_mul_i32 s13, s9, s29
	s_add_i32 s0, s9, s0
	s_sub_i32 s8, s8, s13
	s_lshr_b32 s0, s0, s16
	s_mul_i32 s8, s8, s3
	s_mul_i32 s0, s0, s28
	s_add_i32 s6, s6, s8
	s_sub_i32 s0, s9, s0
	s_lshl_b32 s3, s6, 7
	s_mul_i32 s6, s0, s1
	v_add3_u32 v1, v1, v65, s3
	s_add_i32 s12, s12, s6
	s_load_dwordx2 s[0:1], s[4:5], 0x10
	s_lshl_b32 s4, s12, 7
	s_and_b32 s13, s27, 0xffff
	v_add_nc_u32_e32 v3, s34, v1
	v_add3_u32 v2, v2, v65, s4
	s_mov_b32 s12, s26
	s_lshl_b32 s5, s34, 2
	s_clause 0x1
	buffer_load_dword v69, v1, s[12:15], 0 offen
	buffer_load_dword v70, v3, s[12:15], 0 offen
	v_add_nc_u32_e32 v4, s34, v3
	v_add_nc_u32_e32 v5, s33, v2
	;; [unrolled: 1-line block ×3, first 2 shown]
	s_and_b32 s9, s25, 0xffff
	s_mov_b32 s8, s24
	v_add_nc_u32_e32 v6, s34, v4
	v_add_nc_u32_e32 v1, s33, v5
	s_clause 0x1
	buffer_load_dword v71, v2, s[8:11], 0 offen
	buffer_load_dword v72, v5, s[8:11], 0 offen
	s_clause 0x1
	buffer_load_dword v73, v4, s[12:15], 0 offen
	buffer_load_dword v74, v6, s[12:15], 0 offen
	v_add_nc_u32_e32 v67, s5, v6
	v_add_nc_u32_e32 v75, s5, v3
	;; [unrolled: 1-line block ×4, first 2 shown]
	s_lshl_b32 s6, s33, 2
	s_clause 0x3
	buffer_load_dword v78, v67, s[12:15], 0 offen
	buffer_load_dword v79, v75, s[12:15], 0 offen
	;; [unrolled: 1-line block ×4, first 2 shown]
	s_clause 0x1
	buffer_load_dword v82, v1, s[8:11], 0 offen
	buffer_load_dword v83, v3, s[8:11], 0 offen
	v_add_nc_u32_e32 v68, s6, v3
	v_add_nc_u32_e32 v84, s6, v5
	;; [unrolled: 1-line block ×4, first 2 shown]
	s_clause 0x3
	buffer_load_dword v87, v68, s[8:11], 0 offen
	buffer_load_dword v88, v84, s[8:11], 0 offen
	;; [unrolled: 1-line block ×4, first 2 shown]
	s_mul_i32 s16, s34, 60
	s_mul_i32 s17, s33, 60
	v_add_nc_u32_e32 v93, s16, v67
	v_add_nc_u32_e32 v95, s17, v68
	v_add_nc_u32_e32 v98, s16, v76
	v_add_nc_u32_e32 v99, s16, v75
	v_add_nc_u32_e32 v103, s16, v77
	v_add_nc_u32_e32 v104, s17, v84
	v_lshlrev_b32_e32 v67, 2, v65
	v_and_or_b32 v65, v91, 4, v94
	v_add_nc_u32_e32 v94, s5, v93
	v_add_nc_u32_e32 v97, s6, v95
	;; [unrolled: 1-line block ×4, first 2 shown]
	v_lshl_or_b32 v68, v66, 9, v67
	v_subrev_nc_u32_e32 v96, s34, v94
	v_subrev_nc_u32_e32 v102, s33, v97
	v_lshlrev_b32_e32 v66, 2, v65
	v_lshlrev_b32_e32 v67, 2, v64
	v_mov_b32_e32 v26, 0
	v_subrev_nc_u32_e32 v101, s34, v96
	v_subrev_nc_u32_e32 v107, s33, v102
	v_mov_b32_e32 v33, 0
	v_mov_b32_e32 v34, 0
	;; [unrolled: 1-line block ×3, first 2 shown]
	v_subrev_nc_u32_e32 v106, s34, v101
	v_mov_b32_e32 v27, 0
	v_mov_b32_e32 v31, 0
	;; [unrolled: 1-line block ×56, first 2 shown]
	v_or_b32_e32 v65, s4, v65
	s_waitcnt lgkmcnt(0)
	s_and_b32 s1, s1, 0xffff
	s_lshl_b32 s4, s7, 6
	v_mul_lo_u32 v65, v65, s7
	s_waitcnt vmcnt(14)
	v_perm_b32 v75, v69, v70, 0xc0c0004
	v_perm_b32 v76, v69, v70, 0xc0c0105
	;; [unrolled: 1-line block ×4, first 2 shown]
	s_waitcnt vmcnt(12)
	v_perm_b32 v85, v71, v72, 0xc0c0004
	v_perm_b32 v86, v71, v72, 0xc0c0105
	s_waitcnt vmcnt(10)
	v_perm_b32 v69, v73, v74, 0xc0c0004
	v_perm_b32 v70, v73, v74, 0xc0c0105
	;; [unrolled: 1-line block ×6, first 2 shown]
	v_lshl_or_b32 v69, v69, 16, v75
	v_lshl_or_b32 v70, v70, 16, v76
	;; [unrolled: 1-line block ×4, first 2 shown]
	s_waitcnt vmcnt(7)
	v_perm_b32 v73, v80, v79, 0xc0c0004
	s_waitcnt vmcnt(6)
	v_perm_b32 v74, v81, v78, 0xc0c0004
	v_perm_b32 v75, v80, v79, 0xc0c0105
	v_perm_b32 v76, v81, v78, 0xc0c0105
	v_perm_b32 v77, v80, v79, 0xc0c0206
	v_perm_b32 v84, v81, v78, 0xc0c0206
	v_perm_b32 v79, v80, v79, 0xc0c0307
	v_perm_b32 v78, v81, v78, 0xc0c0307
	s_waitcnt vmcnt(4)
	v_perm_b32 v80, v82, v83, 0xc0c0004
	v_perm_b32 v81, v82, v83, 0xc0c0105
	;; [unrolled: 1-line block ×4, first 2 shown]
	v_lshl_or_b32 v73, v74, 16, v73
	v_lshl_or_b32 v74, v76, 16, v75
	v_lshl_or_b32 v75, v84, 16, v77
	v_lshl_or_b32 v76, v78, 16, v79
	v_lshl_or_b32 v77, v80, 16, v85
	v_lshl_or_b32 v78, v81, 16, v86
	v_lshl_or_b32 v79, v92, 16, v91
	s_waitcnt vmcnt(1)
	v_perm_b32 v81, v89, v88, 0xc0c0004
	s_waitcnt vmcnt(0)
	v_perm_b32 v83, v90, v87, 0xc0c0004
	v_perm_b32 v84, v89, v88, 0xc0c0105
	;; [unrolled: 1-line block ×7, first 2 shown]
	v_lshl_or_b32 v80, v82, 16, v108
	v_lshl_or_b32 v81, v83, 16, v81
	;; [unrolled: 1-line block ×5, first 2 shown]
	v_subrev_nc_u32_e32 v108, s33, v107
	ds_write_b128 v68, v[69:72] offset:16384
	ds_write_b128 v68, v[73:76] offset:16896
	ds_write_b128 v68, v[77:80]
	ds_write_b128 v68, v[81:84] offset:512
	s_waitcnt lgkmcnt(0)
	s_barrier
	ds_read_b128 v[85:88], v66
	ds_read_b128 v[89:92], v67 offset:16384
	s_clause 0x7
	buffer_load_dword v81, v100, s[8:11], 0 offen
	buffer_load_dword v82, v104, s[8:11], 0 offen
	;; [unrolled: 1-line block ×8, first 2 shown]
	s_clause 0x7
	buffer_load_dword v73, v98, s[12:15], 0 offen
	buffer_load_dword v74, v99, s[12:15], 0 offen
	;; [unrolled: 1-line block ×8, first 2 shown]
	ds_read_b128 v[93:96], v67 offset:16640
	ds_read_b128 v[97:100], v66 offset:256
	;; [unrolled: 1-line block ×6, first 2 shown]
	s_waitcnt lgkmcnt(4)
	v_dot4c_i32_i8 v7, v97, v93
	v_dot4c_i32_i8 v57, v85, v93
	;; [unrolled: 1-line block ×33, first 2 shown]
	ds_read_b128 v[85:88], v67 offset:17408
	ds_read_b128 v[117:120], v67 offset:17664
	v_dot4c_i32_i8 v2, v97, v89
	v_dot4c_i32_i8 v4, v97, v90
	;; [unrolled: 1-line block ×31, first 2 shown]
	ds_read_b128 v[89:92], v66 offset:1024
	ds_read_b128 v[93:96], v66 offset:1280
	;; [unrolled: 1-line block ×3, first 2 shown]
	s_waitcnt lgkmcnt(6)
	v_dot4c_i32_i8 v43, v109, v101
	v_dot4c_i32_i8 v54, v109, v102
	;; [unrolled: 1-line block ×32, first 2 shown]
	s_waitcnt lgkmcnt(5)
	v_dot4c_i32_i8 v2, v113, v101
	v_dot4c_i32_i8 v4, v113, v102
	;; [unrolled: 1-line block ×16, first 2 shown]
	ds_read_b128 v[109:112], v67 offset:17920
	s_waitcnt lgkmcnt(3)
	v_dot4c_i32_i8 v43, v89, v85
	v_dot4c_i32_i8 v54, v89, v86
	;; [unrolled: 1-line block ×32, first 2 shown]
	s_waitcnt lgkmcnt(2)
	v_dot4c_i32_i8 v2, v93, v85
	v_dot4c_i32_i8 v4, v93, v86
	;; [unrolled: 1-line block ×16, first 2 shown]
	ds_read_b128 v[85:88], v67 offset:18176
	ds_read_b128 v[89:92], v66 offset:1792
	v_dot4c_i32_i8 v7, v113, v105
	v_dot4c_i32_i8 v12, v113, v106
	;; [unrolled: 1-line block ×32, first 2 shown]
	s_waitcnt lgkmcnt(2)
	v_dot4c_i32_i8 v43, v97, v109
	v_dot4c_i32_i8 v54, v97, v110
	v_dot4c_i32_i8 v55, v97, v111
	v_dot4c_i32_i8 v47, v97, v112
	v_dot4c_i32_i8 v26, v98, v109
	v_dot4c_i32_i8 v33, v98, v110
	v_dot4c_i32_i8 v34, v98, v111
	v_dot4c_i32_i8 v28, v98, v112
	v_dot4c_i32_i8 v27, v99, v109
	v_dot4c_i32_i8 v31, v99, v110
	v_dot4c_i32_i8 v32, v99, v111
	v_dot4c_i32_i8 v29, v99, v112
	v_dot4c_i32_i8 v14, v100, v109
	v_dot4c_i32_i8 v17, v100, v110
	v_dot4c_i32_i8 v18, v100, v111
	v_dot4c_i32_i8 v15, v100, v112
	s_waitcnt lgkmcnt(1)
	v_dot4c_i32_i8 v57, v97, v85
	v_dot4c_i32_i8 v62, v97, v86
	;; [unrolled: 1-line block ×16, first 2 shown]
	ds_read_b128 v[93:96], v66 offset:2048
	ds_read_b128 v[97:100], v67 offset:18432
	;; [unrolled: 1-line block ×3, first 2 shown]
	s_waitcnt lgkmcnt(3)
	v_dot4c_i32_i8 v7, v89, v85
	v_dot4c_i32_i8 v12, v89, v86
	;; [unrolled: 1-line block ×16, first 2 shown]
	ds_read_b128 v[85:88], v66 offset:2304
	v_dot4c_i32_i8 v2, v89, v109
	v_dot4c_i32_i8 v4, v89, v110
	;; [unrolled: 1-line block ×16, first 2 shown]
	s_waitcnt lgkmcnt(2)
	v_dot4c_i32_i8 v43, v93, v97
	v_dot4c_i32_i8 v54, v93, v98
	;; [unrolled: 1-line block ×16, first 2 shown]
	s_waitcnt lgkmcnt(1)
	v_dot4c_i32_i8 v57, v93, v101
	v_dot4c_i32_i8 v62, v93, v102
	;; [unrolled: 1-line block ×16, first 2 shown]
	ds_read_b128 v[89:92], v66 offset:2560
	s_waitcnt lgkmcnt(1)
	v_dot4c_i32_i8 v2, v85, v97
	v_dot4c_i32_i8 v4, v85, v98
	;; [unrolled: 1-line block ×15, first 2 shown]
	ds_read_b128 v[93:96], v67 offset:18944
	v_dot4c_i32_i8 v42, v88, v100
	v_dot4c_i32_i8 v7, v85, v101
	;; [unrolled: 1-line block ×15, first 2 shown]
	ds_read_b128 v[97:100], v67 offset:19200
	v_dot4c_i32_i8 v60, v88, v103
	v_dot4c_i32_i8 v1, v88, v104
	ds_read_b128 v[85:88], v66 offset:2816
	s_waitcnt lgkmcnt(2)
	v_dot4c_i32_i8 v43, v89, v93
	v_dot4c_i32_i8 v54, v89, v94
	;; [unrolled: 1-line block ×16, first 2 shown]
	s_waitcnt lgkmcnt(1)
	v_dot4c_i32_i8 v57, v89, v97
	v_dot4c_i32_i8 v62, v89, v98
	;; [unrolled: 1-line block ×16, first 2 shown]
	ds_read_b128 v[89:92], v66 offset:3072
	s_waitcnt lgkmcnt(1)
	v_dot4c_i32_i8 v2, v85, v93
	v_dot4c_i32_i8 v4, v85, v94
	;; [unrolled: 1-line block ×15, first 2 shown]
	ds_read_b128 v[101:104], v67 offset:19456
	v_dot4c_i32_i8 v42, v88, v96
	v_dot4c_i32_i8 v7, v85, v97
	;; [unrolled: 1-line block ×15, first 2 shown]
	ds_read_b128 v[93:96], v67 offset:19712
	v_dot4c_i32_i8 v60, v88, v99
	v_dot4c_i32_i8 v1, v88, v100
	ds_read_b128 v[85:88], v66 offset:3328
	s_waitcnt lgkmcnt(2)
	v_dot4c_i32_i8 v43, v89, v101
	v_dot4c_i32_i8 v54, v89, v102
	;; [unrolled: 1-line block ×16, first 2 shown]
	s_waitcnt lgkmcnt(1)
	v_dot4c_i32_i8 v57, v89, v93
	v_dot4c_i32_i8 v62, v89, v94
	;; [unrolled: 1-line block ×16, first 2 shown]
	ds_read_b128 v[89:92], v66 offset:3584
	s_waitcnt lgkmcnt(1)
	v_dot4c_i32_i8 v2, v85, v101
	v_dot4c_i32_i8 v4, v85, v102
	;; [unrolled: 1-line block ×15, first 2 shown]
	ds_read_b128 v[97:100], v67 offset:19968
	v_dot4c_i32_i8 v42, v88, v104
	v_dot4c_i32_i8 v7, v85, v93
	;; [unrolled: 1-line block ×15, first 2 shown]
	ds_read_b128 v[101:104], v67 offset:20224
	v_dot4c_i32_i8 v60, v88, v95
	v_dot4c_i32_i8 v1, v88, v96
	ds_read_b128 v[85:88], v66 offset:3840
	s_waitcnt lgkmcnt(2)
	v_dot4c_i32_i8 v43, v89, v97
	v_dot4c_i32_i8 v54, v89, v98
	v_dot4c_i32_i8 v55, v89, v99
	v_dot4c_i32_i8 v47, v89, v100
	v_dot4c_i32_i8 v26, v90, v97
	v_dot4c_i32_i8 v33, v90, v98
	v_dot4c_i32_i8 v34, v90, v99
	v_dot4c_i32_i8 v28, v90, v100
	v_dot4c_i32_i8 v27, v91, v97
	v_dot4c_i32_i8 v31, v91, v98
	v_dot4c_i32_i8 v32, v91, v99
	v_dot4c_i32_i8 v29, v91, v100
	v_dot4c_i32_i8 v14, v92, v97
	v_dot4c_i32_i8 v17, v92, v98
	v_dot4c_i32_i8 v18, v92, v99
	v_dot4c_i32_i8 v15, v92, v100
	s_waitcnt lgkmcnt(1)
	v_dot4c_i32_i8 v57, v89, v101
	v_dot4c_i32_i8 v62, v89, v102
	;; [unrolled: 1-line block ×16, first 2 shown]
	ds_read_b128 v[89:92], v66 offset:4096
	s_waitcnt lgkmcnt(1)
	v_dot4c_i32_i8 v2, v85, v97
	v_dot4c_i32_i8 v4, v85, v98
	;; [unrolled: 1-line block ×15, first 2 shown]
	ds_read_b128 v[93:96], v67 offset:20480
	v_dot4c_i32_i8 v42, v88, v100
	v_dot4c_i32_i8 v7, v85, v101
	;; [unrolled: 1-line block ×15, first 2 shown]
	ds_read_b128 v[97:100], v67 offset:20736
	v_dot4c_i32_i8 v60, v88, v103
	v_dot4c_i32_i8 v1, v88, v104
	ds_read_b128 v[85:88], v66 offset:4352
	s_waitcnt lgkmcnt(2)
	v_dot4c_i32_i8 v43, v89, v93
	v_dot4c_i32_i8 v54, v89, v94
	;; [unrolled: 1-line block ×16, first 2 shown]
	s_waitcnt lgkmcnt(1)
	v_dot4c_i32_i8 v57, v89, v97
	v_dot4c_i32_i8 v62, v89, v98
	;; [unrolled: 1-line block ×16, first 2 shown]
	ds_read_b128 v[89:92], v66 offset:4608
	s_waitcnt lgkmcnt(1)
	v_dot4c_i32_i8 v2, v85, v93
	v_dot4c_i32_i8 v4, v85, v94
	;; [unrolled: 1-line block ×15, first 2 shown]
	ds_read_b128 v[101:104], v67 offset:20992
	v_dot4c_i32_i8 v42, v88, v96
	v_dot4c_i32_i8 v7, v85, v97
	;; [unrolled: 1-line block ×15, first 2 shown]
	ds_read_b128 v[93:96], v67 offset:21248
	v_dot4c_i32_i8 v60, v88, v99
	v_dot4c_i32_i8 v1, v88, v100
	ds_read_b128 v[85:88], v66 offset:4864
	s_waitcnt lgkmcnt(2)
	v_dot4c_i32_i8 v43, v89, v101
	v_dot4c_i32_i8 v54, v89, v102
	;; [unrolled: 1-line block ×16, first 2 shown]
	s_waitcnt lgkmcnt(1)
	v_dot4c_i32_i8 v57, v89, v93
	v_dot4c_i32_i8 v62, v89, v94
	;; [unrolled: 1-line block ×16, first 2 shown]
	ds_read_b128 v[89:92], v66 offset:5120
	s_waitcnt lgkmcnt(1)
	v_dot4c_i32_i8 v2, v85, v101
	v_dot4c_i32_i8 v4, v85, v102
	;; [unrolled: 1-line block ×15, first 2 shown]
	ds_read_b128 v[97:100], v67 offset:21504
	v_dot4c_i32_i8 v42, v88, v104
	v_dot4c_i32_i8 v7, v85, v93
	;; [unrolled: 1-line block ×15, first 2 shown]
	ds_read_b128 v[101:104], v67 offset:21760
	v_dot4c_i32_i8 v60, v88, v95
	v_dot4c_i32_i8 v1, v88, v96
	ds_read_b128 v[85:88], v66 offset:5376
	s_waitcnt lgkmcnt(2)
	v_dot4c_i32_i8 v43, v89, v97
	v_dot4c_i32_i8 v54, v89, v98
	;; [unrolled: 1-line block ×16, first 2 shown]
	s_waitcnt lgkmcnt(1)
	v_dot4c_i32_i8 v57, v89, v101
	v_dot4c_i32_i8 v62, v89, v102
	v_dot4c_i32_i8 v63, v89, v103
	v_dot4c_i32_i8 v61, v89, v104
	v_dot4c_i32_i8 v52, v90, v101
	v_dot4c_i32_i8 v58, v90, v102
	v_dot4c_i32_i8 v59, v90, v103
	v_dot4c_i32_i8 v53, v90, v104
	v_dot4c_i32_i8 v30, v91, v101
	v_dot4c_i32_i8 v44, v91, v102
	v_dot4c_i32_i8 v41, v91, v103
	v_dot4c_i32_i8 v36, v91, v104
	v_dot4c_i32_i8 v35, v92, v101
	v_dot4c_i32_i8 v39, v92, v102
	v_dot4c_i32_i8 v40, v92, v103
	v_dot4c_i32_i8 v37, v92, v104
	ds_read_b128 v[89:92], v66 offset:5632
	s_waitcnt lgkmcnt(1)
	v_dot4c_i32_i8 v2, v85, v97
	v_dot4c_i32_i8 v4, v85, v98
	;; [unrolled: 1-line block ×15, first 2 shown]
	ds_read_b128 v[93:96], v67 offset:22016
	v_dot4c_i32_i8 v42, v88, v100
	v_dot4c_i32_i8 v7, v85, v101
	;; [unrolled: 1-line block ×15, first 2 shown]
	ds_read_b128 v[97:100], v67 offset:22272
	v_dot4c_i32_i8 v60, v88, v103
	v_dot4c_i32_i8 v1, v88, v104
	ds_read_b128 v[85:88], v66 offset:5888
	s_waitcnt lgkmcnt(2)
	v_dot4c_i32_i8 v43, v89, v93
	v_dot4c_i32_i8 v54, v89, v94
	;; [unrolled: 1-line block ×16, first 2 shown]
	s_waitcnt lgkmcnt(1)
	v_dot4c_i32_i8 v57, v89, v97
	v_dot4c_i32_i8 v62, v89, v98
	;; [unrolled: 1-line block ×16, first 2 shown]
	ds_read_b128 v[89:92], v66 offset:6144
	s_waitcnt lgkmcnt(1)
	v_dot4c_i32_i8 v2, v85, v93
	v_dot4c_i32_i8 v4, v85, v94
	;; [unrolled: 1-line block ×15, first 2 shown]
	ds_read_b128 v[101:104], v67 offset:22528
	v_dot4c_i32_i8 v42, v88, v96
	v_dot4c_i32_i8 v7, v85, v97
	;; [unrolled: 1-line block ×15, first 2 shown]
	ds_read_b128 v[93:96], v67 offset:22784
	v_dot4c_i32_i8 v60, v88, v99
	v_dot4c_i32_i8 v1, v88, v100
	ds_read_b128 v[85:88], v66 offset:6400
	s_waitcnt lgkmcnt(2)
	v_dot4c_i32_i8 v43, v89, v101
	v_dot4c_i32_i8 v54, v89, v102
	;; [unrolled: 1-line block ×16, first 2 shown]
	s_waitcnt lgkmcnt(1)
	v_dot4c_i32_i8 v57, v89, v93
	v_dot4c_i32_i8 v62, v89, v94
	;; [unrolled: 1-line block ×16, first 2 shown]
	ds_read_b128 v[89:92], v66 offset:6656
	s_waitcnt lgkmcnt(1)
	v_dot4c_i32_i8 v2, v85, v101
	v_dot4c_i32_i8 v4, v85, v102
	;; [unrolled: 1-line block ×15, first 2 shown]
	ds_read_b128 v[97:100], v67 offset:23040
	v_dot4c_i32_i8 v42, v88, v104
	v_dot4c_i32_i8 v7, v85, v93
	v_dot4c_i32_i8 v12, v85, v94
	v_dot4c_i32_i8 v13, v85, v95
	v_dot4c_i32_i8 v9, v85, v96
	v_dot4c_i32_i8 v19, v86, v93
	v_dot4c_i32_i8 v24, v86, v94
	v_dot4c_i32_i8 v25, v86, v95
	v_dot4c_i32_i8 v21, v86, v96
	v_dot4c_i32_i8 v0, v87, v93
	v_dot4c_i32_i8 v49, v87, v94
	v_dot4c_i32_i8 v50, v87, v95
	v_dot4c_i32_i8 v48, v87, v96
	v_dot4c_i32_i8 v51, v88, v93
	v_dot4c_i32_i8 v56, v88, v94
	ds_read_b128 v[101:104], v67 offset:23296
	v_dot4c_i32_i8 v60, v88, v95
	v_dot4c_i32_i8 v1, v88, v96
	ds_read_b128 v[85:88], v66 offset:6912
	s_waitcnt lgkmcnt(2)
	v_dot4c_i32_i8 v43, v89, v97
	v_dot4c_i32_i8 v54, v89, v98
	;; [unrolled: 1-line block ×16, first 2 shown]
	s_waitcnt lgkmcnt(1)
	v_dot4c_i32_i8 v57, v89, v101
	v_dot4c_i32_i8 v62, v89, v102
	;; [unrolled: 1-line block ×16, first 2 shown]
	ds_read_b128 v[89:92], v66 offset:7168
	s_waitcnt lgkmcnt(1)
	v_dot4c_i32_i8 v2, v85, v97
	v_dot4c_i32_i8 v4, v85, v98
	;; [unrolled: 1-line block ×15, first 2 shown]
	ds_read_b128 v[93:96], v67 offset:23552
	v_dot4c_i32_i8 v42, v88, v100
	v_dot4c_i32_i8 v7, v85, v101
	;; [unrolled: 1-line block ×15, first 2 shown]
	ds_read_b128 v[97:100], v67 offset:23808
	v_dot4c_i32_i8 v60, v88, v103
	v_dot4c_i32_i8 v1, v88, v104
	ds_read_b128 v[85:88], v66 offset:7424
	s_waitcnt lgkmcnt(2)
	v_dot4c_i32_i8 v43, v89, v93
	v_dot4c_i32_i8 v54, v89, v94
	;; [unrolled: 1-line block ×16, first 2 shown]
	s_waitcnt lgkmcnt(1)
	v_dot4c_i32_i8 v57, v89, v97
	v_dot4c_i32_i8 v62, v89, v98
	;; [unrolled: 1-line block ×16, first 2 shown]
	ds_read_b128 v[89:92], v66 offset:7680
	s_waitcnt lgkmcnt(1)
	v_dot4c_i32_i8 v2, v85, v93
	v_dot4c_i32_i8 v4, v85, v94
	;; [unrolled: 1-line block ×15, first 2 shown]
	ds_read_b128 v[101:104], v67 offset:24064
	v_dot4c_i32_i8 v42, v88, v96
	ds_read_b128 v[93:96], v67 offset:24320
	v_dot4c_i32_i8 v7, v85, v97
	v_dot4c_i32_i8 v12, v85, v98
	;; [unrolled: 1-line block ×16, first 2 shown]
	ds_read_b128 v[85:88], v66 offset:7936
	s_waitcnt lgkmcnt(2)
	v_dot4c_i32_i8 v43, v89, v101
	v_dot4c_i32_i8 v54, v89, v102
	;; [unrolled: 1-line block ×8, first 2 shown]
	s_waitcnt lgkmcnt(1)
	v_dot4c_i32_i8 v57, v89, v93
	v_dot4c_i32_i8 v62, v89, v94
	;; [unrolled: 1-line block ×8, first 2 shown]
	s_waitcnt vmcnt(14)
	v_perm_b32 v89, v81, v82, 0xc0c0004
	s_waitcnt vmcnt(12)
	v_perm_b32 v90, v83, v84, 0xc0c0004
	v_dot4c_i32_i8 v27, v91, v101
	v_dot4c_i32_i8 v31, v91, v102
	;; [unrolled: 1-line block ×16, first 2 shown]
	v_lshl_or_b32 v89, v90, 16, v89
	v_perm_b32 v90, v81, v82, 0xc0c0105
	v_perm_b32 v91, v83, v84, 0xc0c0105
	;; [unrolled: 1-line block ×6, first 2 shown]
	s_waitcnt vmcnt(8)
	v_perm_b32 v83, v80, v79, 0xc0c0004
	v_perm_b32 v84, v78, v77, 0xc0c0004
	;; [unrolled: 1-line block ×4, first 2 shown]
	v_lshl_or_b32 v90, v91, 16, v90
	v_lshl_or_b32 v91, v97, 16, v92
	;; [unrolled: 1-line block ×5, first 2 shown]
	v_perm_b32 v83, v80, v79, 0xc0c0206
	v_perm_b32 v84, v78, v77, 0xc0c0206
	v_perm_b32 v79, v80, v79, 0xc0c0307
	v_perm_b32 v77, v78, v77, 0xc0c0307
	s_waitcnt vmcnt(6)
	v_perm_b32 v78, v73, v74, 0xc0c0004
	s_waitcnt vmcnt(4)
	v_perm_b32 v80, v75, v76, 0xc0c0004
	v_perm_b32 v97, v73, v74, 0xc0c0105
	;; [unrolled: 1-line block ×7, first 2 shown]
	s_waitcnt lgkmcnt(0)
	v_dot4c_i32_i8 v2, v85, v101
	v_dot4c_i32_i8 v6, v86, v101
	;; [unrolled: 1-line block ×4, first 2 shown]
	v_lshl_or_b32 v83, v84, 16, v83
	v_lshl_or_b32 v84, v77, 16, v79
	;; [unrolled: 1-line block ×5, first 2 shown]
	s_waitcnt vmcnt(0)
	v_perm_b32 v75, v72, v71, 0xc0c0004
	v_perm_b32 v76, v70, v69, 0xc0c0004
	;; [unrolled: 1-line block ×8, first 2 shown]
	v_lshl_or_b32 v80, v74, 16, v73
	v_lshl_or_b32 v69, v76, 16, v75
	;; [unrolled: 1-line block ×5, first 2 shown]
	ds_write_b128 v68, v[89:92] offset:8192
	ds_write_b128 v68, v[81:84] offset:8704
	;; [unrolled: 1-line block ×4, first 2 shown]
	s_waitcnt lgkmcnt(0)
	s_barrier
	ds_read_b128 v[68:71], v66 offset:8192
	ds_read_b128 v[72:75], v67 offset:24576
	;; [unrolled: 1-line block ×4, first 2 shown]
	v_dot4c_i32_i8 v4, v85, v102
	v_dot4c_i32_i8 v5, v85, v103
	;; [unrolled: 1-line block ×28, first 2 shown]
	s_waitcnt lgkmcnt(2)
	v_dot4c_i32_i8 v43, v68, v72
	v_dot4c_i32_i8 v54, v68, v73
	;; [unrolled: 1-line block ×16, first 2 shown]
	ds_read_b128 v[84:87], v67 offset:25088
	s_waitcnt lgkmcnt(2)
	v_dot4c_i32_i8 v57, v68, v76
	v_dot4c_i32_i8 v62, v68, v77
	;; [unrolled: 1-line block ×16, first 2 shown]
	ds_read_b128 v[68:71], v66 offset:8704
	s_waitcnt lgkmcnt(2)
	v_dot4c_i32_i8 v2, v80, v72
	v_dot4c_i32_i8 v4, v80, v73
	;; [unrolled: 1-line block ×30, first 2 shown]
	ds_read_b128 v[72:75], v67 offset:25344
	v_dot4c_i32_i8 v60, v83, v78
	v_dot4c_i32_i8 v1, v83, v79
	ds_read_b128 v[76:79], v66 offset:8960
	s_waitcnt lgkmcnt(2)
	v_dot4c_i32_i8 v43, v68, v84
	v_dot4c_i32_i8 v54, v68, v85
	v_dot4c_i32_i8 v55, v68, v86
	v_dot4c_i32_i8 v47, v68, v87
	v_dot4c_i32_i8 v26, v69, v84
	v_dot4c_i32_i8 v33, v69, v85
	v_dot4c_i32_i8 v34, v69, v86
	v_dot4c_i32_i8 v28, v69, v87
	v_dot4c_i32_i8 v27, v70, v84
	v_dot4c_i32_i8 v31, v70, v85
	v_dot4c_i32_i8 v32, v70, v86
	v_dot4c_i32_i8 v29, v70, v87
	v_dot4c_i32_i8 v14, v71, v84
	v_dot4c_i32_i8 v17, v71, v85
	v_dot4c_i32_i8 v18, v71, v86
	v_dot4c_i32_i8 v15, v71, v87
	ds_read_b128 v[80:83], v67 offset:25600
	s_waitcnt lgkmcnt(2)
	v_dot4c_i32_i8 v57, v68, v72
	v_dot4c_i32_i8 v62, v68, v73
	v_dot4c_i32_i8 v63, v68, v74
	v_dot4c_i32_i8 v61, v68, v75
	v_dot4c_i32_i8 v52, v69, v72
	v_dot4c_i32_i8 v58, v69, v73
	v_dot4c_i32_i8 v59, v69, v74
	v_dot4c_i32_i8 v53, v69, v75
	v_dot4c_i32_i8 v30, v70, v72
	v_dot4c_i32_i8 v44, v70, v73
	v_dot4c_i32_i8 v41, v70, v74
	v_dot4c_i32_i8 v36, v70, v75
	v_dot4c_i32_i8 v35, v71, v72
	v_dot4c_i32_i8 v39, v71, v73
	;; [unrolled: 18-line block ×3, first 2 shown]
	v_dot4c_i32_i8 v46, v79, v86
	v_dot4c_i32_i8 v42, v79, v87
	;; [unrolled: 1-line block ×16, first 2 shown]
	ds_read_b128 v[84:87], v67 offset:25856
	v_dot4c_i32_i8 v60, v79, v74
	v_dot4c_i32_i8 v1, v79, v75
	ds_read_b128 v[72:75], v66 offset:9472
	s_waitcnt lgkmcnt(2)
	v_dot4c_i32_i8 v43, v68, v80
	v_dot4c_i32_i8 v54, v68, v81
	v_dot4c_i32_i8 v55, v68, v82
	v_dot4c_i32_i8 v47, v68, v83
	v_dot4c_i32_i8 v26, v69, v80
	v_dot4c_i32_i8 v33, v69, v81
	v_dot4c_i32_i8 v34, v69, v82
	v_dot4c_i32_i8 v28, v69, v83
	v_dot4c_i32_i8 v27, v70, v80
	v_dot4c_i32_i8 v31, v70, v81
	v_dot4c_i32_i8 v32, v70, v82
	v_dot4c_i32_i8 v29, v70, v83
	v_dot4c_i32_i8 v14, v71, v80
	v_dot4c_i32_i8 v17, v71, v81
	v_dot4c_i32_i8 v18, v71, v82
	v_dot4c_i32_i8 v15, v71, v83
	ds_read_b128 v[76:79], v67 offset:26112
	s_waitcnt lgkmcnt(2)
	v_dot4c_i32_i8 v57, v68, v84
	v_dot4c_i32_i8 v62, v68, v85
	v_dot4c_i32_i8 v63, v68, v86
	v_dot4c_i32_i8 v61, v68, v87
	v_dot4c_i32_i8 v52, v69, v84
	v_dot4c_i32_i8 v58, v69, v85
	v_dot4c_i32_i8 v59, v69, v86
	v_dot4c_i32_i8 v53, v69, v87
	v_dot4c_i32_i8 v30, v70, v84
	v_dot4c_i32_i8 v44, v70, v85
	v_dot4c_i32_i8 v41, v70, v86
	v_dot4c_i32_i8 v36, v70, v87
	v_dot4c_i32_i8 v35, v71, v84
	v_dot4c_i32_i8 v39, v71, v85
	v_dot4c_i32_i8 v40, v71, v86
	v_dot4c_i32_i8 v37, v71, v87
	ds_read_b128 v[68:71], v66 offset:9728
	s_waitcnt lgkmcnt(2)
	v_dot4c_i32_i8 v2, v72, v80
	v_dot4c_i32_i8 v4, v72, v81
	v_dot4c_i32_i8 v5, v72, v82
	v_dot4c_i32_i8 v3, v72, v83
	v_dot4c_i32_i8 v6, v73, v80
	v_dot4c_i32_i8 v10, v73, v81
	v_dot4c_i32_i8 v11, v73, v82
	v_dot4c_i32_i8 v8, v73, v83
	v_dot4c_i32_i8 v16, v74, v80
	v_dot4c_i32_i8 v22, v74, v81
	v_dot4c_i32_i8 v23, v74, v82
	v_dot4c_i32_i8 v20, v74, v83
	v_dot4c_i32_i8 v38, v75, v80
	v_dot4c_i32_i8 v45, v75, v81
	v_dot4c_i32_i8 v46, v75, v82
	v_dot4c_i32_i8 v42, v75, v83
	;; [unrolled: 1-line block ×16, first 2 shown]
	ds_read_b128 v[80:83], v67 offset:26368
	v_dot4c_i32_i8 v60, v75, v86
	v_dot4c_i32_i8 v1, v75, v87
	ds_read_b128 v[72:75], v66 offset:9984
	s_waitcnt lgkmcnt(2)
	v_dot4c_i32_i8 v43, v68, v76
	v_dot4c_i32_i8 v54, v68, v77
	v_dot4c_i32_i8 v55, v68, v78
	v_dot4c_i32_i8 v47, v68, v79
	v_dot4c_i32_i8 v26, v69, v76
	v_dot4c_i32_i8 v33, v69, v77
	v_dot4c_i32_i8 v34, v69, v78
	v_dot4c_i32_i8 v28, v69, v79
	v_dot4c_i32_i8 v27, v70, v76
	v_dot4c_i32_i8 v31, v70, v77
	v_dot4c_i32_i8 v32, v70, v78
	v_dot4c_i32_i8 v29, v70, v79
	v_dot4c_i32_i8 v14, v71, v76
	v_dot4c_i32_i8 v17, v71, v77
	v_dot4c_i32_i8 v18, v71, v78
	v_dot4c_i32_i8 v15, v71, v79
	ds_read_b128 v[84:87], v67 offset:26624
	s_waitcnt lgkmcnt(2)
	v_dot4c_i32_i8 v57, v68, v80
	v_dot4c_i32_i8 v62, v68, v81
	v_dot4c_i32_i8 v63, v68, v82
	v_dot4c_i32_i8 v61, v68, v83
	v_dot4c_i32_i8 v52, v69, v80
	v_dot4c_i32_i8 v58, v69, v81
	v_dot4c_i32_i8 v59, v69, v82
	v_dot4c_i32_i8 v53, v69, v83
	v_dot4c_i32_i8 v30, v70, v80
	v_dot4c_i32_i8 v44, v70, v81
	v_dot4c_i32_i8 v41, v70, v82
	v_dot4c_i32_i8 v36, v70, v83
	v_dot4c_i32_i8 v35, v71, v80
	v_dot4c_i32_i8 v39, v71, v81
	;; [unrolled: 18-line block ×3, first 2 shown]
	v_dot4c_i32_i8 v46, v75, v78
	v_dot4c_i32_i8 v42, v75, v79
	;; [unrolled: 1-line block ×16, first 2 shown]
	ds_read_b128 v[76:79], v67 offset:26880
	v_dot4c_i32_i8 v60, v75, v82
	v_dot4c_i32_i8 v1, v75, v83
	ds_read_b128 v[72:75], v66 offset:10496
	s_waitcnt lgkmcnt(2)
	v_dot4c_i32_i8 v43, v68, v84
	v_dot4c_i32_i8 v54, v68, v85
	v_dot4c_i32_i8 v55, v68, v86
	v_dot4c_i32_i8 v47, v68, v87
	v_dot4c_i32_i8 v26, v69, v84
	v_dot4c_i32_i8 v33, v69, v85
	v_dot4c_i32_i8 v34, v69, v86
	v_dot4c_i32_i8 v28, v69, v87
	v_dot4c_i32_i8 v27, v70, v84
	v_dot4c_i32_i8 v31, v70, v85
	v_dot4c_i32_i8 v32, v70, v86
	v_dot4c_i32_i8 v29, v70, v87
	v_dot4c_i32_i8 v14, v71, v84
	v_dot4c_i32_i8 v17, v71, v85
	v_dot4c_i32_i8 v18, v71, v86
	v_dot4c_i32_i8 v15, v71, v87
	ds_read_b128 v[80:83], v67 offset:27136
	s_waitcnt lgkmcnt(2)
	v_dot4c_i32_i8 v57, v68, v76
	v_dot4c_i32_i8 v62, v68, v77
	v_dot4c_i32_i8 v63, v68, v78
	v_dot4c_i32_i8 v61, v68, v79
	v_dot4c_i32_i8 v52, v69, v76
	v_dot4c_i32_i8 v58, v69, v77
	v_dot4c_i32_i8 v59, v69, v78
	v_dot4c_i32_i8 v53, v69, v79
	v_dot4c_i32_i8 v30, v70, v76
	v_dot4c_i32_i8 v44, v70, v77
	v_dot4c_i32_i8 v41, v70, v78
	v_dot4c_i32_i8 v36, v70, v79
	v_dot4c_i32_i8 v35, v71, v76
	v_dot4c_i32_i8 v39, v71, v77
	;; [unrolled: 18-line block ×3, first 2 shown]
	v_dot4c_i32_i8 v46, v75, v86
	v_dot4c_i32_i8 v42, v75, v87
	;; [unrolled: 1-line block ×16, first 2 shown]
	ds_read_b128 v[84:87], v67 offset:27392
	v_dot4c_i32_i8 v60, v75, v78
	v_dot4c_i32_i8 v1, v75, v79
	ds_read_b128 v[72:75], v66 offset:11008
	s_waitcnt lgkmcnt(2)
	v_dot4c_i32_i8 v43, v68, v80
	v_dot4c_i32_i8 v54, v68, v81
	v_dot4c_i32_i8 v55, v68, v82
	v_dot4c_i32_i8 v47, v68, v83
	v_dot4c_i32_i8 v26, v69, v80
	v_dot4c_i32_i8 v33, v69, v81
	v_dot4c_i32_i8 v34, v69, v82
	v_dot4c_i32_i8 v28, v69, v83
	v_dot4c_i32_i8 v27, v70, v80
	v_dot4c_i32_i8 v31, v70, v81
	v_dot4c_i32_i8 v32, v70, v82
	v_dot4c_i32_i8 v29, v70, v83
	v_dot4c_i32_i8 v14, v71, v80
	v_dot4c_i32_i8 v17, v71, v81
	v_dot4c_i32_i8 v18, v71, v82
	v_dot4c_i32_i8 v15, v71, v83
	ds_read_b128 v[76:79], v67 offset:27648
	s_waitcnt lgkmcnt(2)
	v_dot4c_i32_i8 v57, v68, v84
	v_dot4c_i32_i8 v62, v68, v85
	v_dot4c_i32_i8 v63, v68, v86
	v_dot4c_i32_i8 v61, v68, v87
	v_dot4c_i32_i8 v52, v69, v84
	v_dot4c_i32_i8 v58, v69, v85
	v_dot4c_i32_i8 v59, v69, v86
	v_dot4c_i32_i8 v53, v69, v87
	v_dot4c_i32_i8 v30, v70, v84
	v_dot4c_i32_i8 v44, v70, v85
	v_dot4c_i32_i8 v41, v70, v86
	v_dot4c_i32_i8 v36, v70, v87
	v_dot4c_i32_i8 v35, v71, v84
	v_dot4c_i32_i8 v39, v71, v85
	v_dot4c_i32_i8 v40, v71, v86
	v_dot4c_i32_i8 v37, v71, v87
	ds_read_b128 v[68:71], v66 offset:11264
	s_waitcnt lgkmcnt(2)
	v_dot4c_i32_i8 v2, v72, v80
	v_dot4c_i32_i8 v4, v72, v81
	v_dot4c_i32_i8 v5, v72, v82
	v_dot4c_i32_i8 v3, v72, v83
	v_dot4c_i32_i8 v6, v73, v80
	v_dot4c_i32_i8 v10, v73, v81
	v_dot4c_i32_i8 v11, v73, v82
	v_dot4c_i32_i8 v8, v73, v83
	v_dot4c_i32_i8 v16, v74, v80
	v_dot4c_i32_i8 v22, v74, v81
	v_dot4c_i32_i8 v23, v74, v82
	v_dot4c_i32_i8 v20, v74, v83
	v_dot4c_i32_i8 v38, v75, v80
	v_dot4c_i32_i8 v45, v75, v81
	v_dot4c_i32_i8 v46, v75, v82
	v_dot4c_i32_i8 v42, v75, v83
	;; [unrolled: 1-line block ×16, first 2 shown]
	ds_read_b128 v[80:83], v67 offset:27904
	v_dot4c_i32_i8 v60, v75, v86
	v_dot4c_i32_i8 v1, v75, v87
	ds_read_b128 v[72:75], v66 offset:11520
	s_waitcnt lgkmcnt(2)
	v_dot4c_i32_i8 v43, v68, v76
	v_dot4c_i32_i8 v54, v68, v77
	v_dot4c_i32_i8 v55, v68, v78
	v_dot4c_i32_i8 v47, v68, v79
	v_dot4c_i32_i8 v26, v69, v76
	v_dot4c_i32_i8 v33, v69, v77
	v_dot4c_i32_i8 v34, v69, v78
	v_dot4c_i32_i8 v28, v69, v79
	v_dot4c_i32_i8 v27, v70, v76
	v_dot4c_i32_i8 v31, v70, v77
	v_dot4c_i32_i8 v32, v70, v78
	v_dot4c_i32_i8 v29, v70, v79
	v_dot4c_i32_i8 v14, v71, v76
	v_dot4c_i32_i8 v17, v71, v77
	v_dot4c_i32_i8 v18, v71, v78
	v_dot4c_i32_i8 v15, v71, v79
	ds_read_b128 v[84:87], v67 offset:28160
	s_waitcnt lgkmcnt(2)
	v_dot4c_i32_i8 v57, v68, v80
	v_dot4c_i32_i8 v62, v68, v81
	v_dot4c_i32_i8 v63, v68, v82
	v_dot4c_i32_i8 v61, v68, v83
	v_dot4c_i32_i8 v52, v69, v80
	v_dot4c_i32_i8 v58, v69, v81
	v_dot4c_i32_i8 v59, v69, v82
	v_dot4c_i32_i8 v53, v69, v83
	v_dot4c_i32_i8 v30, v70, v80
	v_dot4c_i32_i8 v44, v70, v81
	v_dot4c_i32_i8 v41, v70, v82
	v_dot4c_i32_i8 v36, v70, v83
	v_dot4c_i32_i8 v35, v71, v80
	v_dot4c_i32_i8 v39, v71, v81
	;; [unrolled: 18-line block ×3, first 2 shown]
	v_dot4c_i32_i8 v46, v75, v78
	v_dot4c_i32_i8 v42, v75, v79
	;; [unrolled: 1-line block ×16, first 2 shown]
	ds_read_b128 v[76:79], v67 offset:28416
	v_dot4c_i32_i8 v60, v75, v82
	v_dot4c_i32_i8 v1, v75, v83
	ds_read_b128 v[72:75], v66 offset:12032
	s_waitcnt lgkmcnt(2)
	v_dot4c_i32_i8 v43, v68, v84
	v_dot4c_i32_i8 v54, v68, v85
	v_dot4c_i32_i8 v55, v68, v86
	v_dot4c_i32_i8 v47, v68, v87
	v_dot4c_i32_i8 v26, v69, v84
	v_dot4c_i32_i8 v33, v69, v85
	v_dot4c_i32_i8 v34, v69, v86
	v_dot4c_i32_i8 v28, v69, v87
	v_dot4c_i32_i8 v27, v70, v84
	v_dot4c_i32_i8 v31, v70, v85
	v_dot4c_i32_i8 v32, v70, v86
	v_dot4c_i32_i8 v29, v70, v87
	v_dot4c_i32_i8 v14, v71, v84
	v_dot4c_i32_i8 v17, v71, v85
	v_dot4c_i32_i8 v18, v71, v86
	v_dot4c_i32_i8 v15, v71, v87
	ds_read_b128 v[80:83], v67 offset:28672
	s_waitcnt lgkmcnt(2)
	v_dot4c_i32_i8 v57, v68, v76
	v_dot4c_i32_i8 v62, v68, v77
	v_dot4c_i32_i8 v63, v68, v78
	v_dot4c_i32_i8 v61, v68, v79
	v_dot4c_i32_i8 v52, v69, v76
	v_dot4c_i32_i8 v58, v69, v77
	v_dot4c_i32_i8 v59, v69, v78
	v_dot4c_i32_i8 v53, v69, v79
	v_dot4c_i32_i8 v30, v70, v76
	v_dot4c_i32_i8 v44, v70, v77
	v_dot4c_i32_i8 v41, v70, v78
	v_dot4c_i32_i8 v36, v70, v79
	v_dot4c_i32_i8 v35, v71, v76
	v_dot4c_i32_i8 v39, v71, v77
	;; [unrolled: 18-line block ×3, first 2 shown]
	v_dot4c_i32_i8 v46, v75, v86
	v_dot4c_i32_i8 v42, v75, v87
	;; [unrolled: 1-line block ×16, first 2 shown]
	ds_read_b128 v[84:87], v67 offset:28928
	v_dot4c_i32_i8 v60, v75, v78
	v_dot4c_i32_i8 v1, v75, v79
	ds_read_b128 v[72:75], v66 offset:12544
	s_waitcnt lgkmcnt(2)
	v_dot4c_i32_i8 v43, v68, v80
	v_dot4c_i32_i8 v54, v68, v81
	v_dot4c_i32_i8 v55, v68, v82
	v_dot4c_i32_i8 v47, v68, v83
	v_dot4c_i32_i8 v26, v69, v80
	v_dot4c_i32_i8 v33, v69, v81
	v_dot4c_i32_i8 v34, v69, v82
	v_dot4c_i32_i8 v28, v69, v83
	v_dot4c_i32_i8 v27, v70, v80
	v_dot4c_i32_i8 v31, v70, v81
	v_dot4c_i32_i8 v32, v70, v82
	v_dot4c_i32_i8 v29, v70, v83
	v_dot4c_i32_i8 v14, v71, v80
	v_dot4c_i32_i8 v17, v71, v81
	v_dot4c_i32_i8 v18, v71, v82
	v_dot4c_i32_i8 v15, v71, v83
	ds_read_b128 v[76:79], v67 offset:29184
	s_waitcnt lgkmcnt(2)
	v_dot4c_i32_i8 v57, v68, v84
	v_dot4c_i32_i8 v62, v68, v85
	v_dot4c_i32_i8 v63, v68, v86
	v_dot4c_i32_i8 v61, v68, v87
	v_dot4c_i32_i8 v52, v69, v84
	v_dot4c_i32_i8 v58, v69, v85
	v_dot4c_i32_i8 v59, v69, v86
	v_dot4c_i32_i8 v53, v69, v87
	v_dot4c_i32_i8 v30, v70, v84
	v_dot4c_i32_i8 v44, v70, v85
	v_dot4c_i32_i8 v41, v70, v86
	v_dot4c_i32_i8 v36, v70, v87
	v_dot4c_i32_i8 v35, v71, v84
	v_dot4c_i32_i8 v39, v71, v85
	;; [unrolled: 18-line block ×3, first 2 shown]
	v_dot4c_i32_i8 v46, v75, v82
	v_dot4c_i32_i8 v42, v75, v83
	;; [unrolled: 1-line block ×16, first 2 shown]
	ds_read_b128 v[80:83], v67 offset:29440
	v_dot4c_i32_i8 v60, v75, v86
	v_dot4c_i32_i8 v1, v75, v87
	ds_read_b128 v[72:75], v66 offset:13056
	s_waitcnt lgkmcnt(2)
	v_dot4c_i32_i8 v43, v68, v76
	v_dot4c_i32_i8 v54, v68, v77
	v_dot4c_i32_i8 v55, v68, v78
	v_dot4c_i32_i8 v47, v68, v79
	v_dot4c_i32_i8 v26, v69, v76
	v_dot4c_i32_i8 v33, v69, v77
	v_dot4c_i32_i8 v34, v69, v78
	v_dot4c_i32_i8 v28, v69, v79
	v_dot4c_i32_i8 v27, v70, v76
	v_dot4c_i32_i8 v31, v70, v77
	v_dot4c_i32_i8 v32, v70, v78
	v_dot4c_i32_i8 v29, v70, v79
	v_dot4c_i32_i8 v14, v71, v76
	v_dot4c_i32_i8 v17, v71, v77
	v_dot4c_i32_i8 v18, v71, v78
	v_dot4c_i32_i8 v15, v71, v79
	ds_read_b128 v[84:87], v67 offset:29696
	s_waitcnt lgkmcnt(2)
	v_dot4c_i32_i8 v57, v68, v80
	v_dot4c_i32_i8 v62, v68, v81
	v_dot4c_i32_i8 v63, v68, v82
	v_dot4c_i32_i8 v61, v68, v83
	v_dot4c_i32_i8 v52, v69, v80
	v_dot4c_i32_i8 v58, v69, v81
	v_dot4c_i32_i8 v59, v69, v82
	v_dot4c_i32_i8 v53, v69, v83
	v_dot4c_i32_i8 v30, v70, v80
	v_dot4c_i32_i8 v44, v70, v81
	v_dot4c_i32_i8 v41, v70, v82
	v_dot4c_i32_i8 v36, v70, v83
	v_dot4c_i32_i8 v35, v71, v80
	v_dot4c_i32_i8 v39, v71, v81
	;; [unrolled: 18-line block ×3, first 2 shown]
	v_dot4c_i32_i8 v46, v75, v78
	v_dot4c_i32_i8 v42, v75, v79
	v_dot4c_i32_i8 v7, v72, v80
	v_dot4c_i32_i8 v12, v72, v81
	v_dot4c_i32_i8 v13, v72, v82
	v_dot4c_i32_i8 v9, v72, v83
	v_dot4c_i32_i8 v19, v73, v80
	v_dot4c_i32_i8 v24, v73, v81
	v_dot4c_i32_i8 v25, v73, v82
	v_dot4c_i32_i8 v21, v73, v83
	v_dot4c_i32_i8 v0, v74, v80
	v_dot4c_i32_i8 v49, v74, v81
	v_dot4c_i32_i8 v50, v74, v82
	v_dot4c_i32_i8 v48, v74, v83
	v_dot4c_i32_i8 v51, v75, v80
	v_dot4c_i32_i8 v56, v75, v81
	ds_read_b128 v[76:79], v67 offset:29952
	v_dot4c_i32_i8 v60, v75, v82
	v_dot4c_i32_i8 v1, v75, v83
	ds_read_b128 v[72:75], v66 offset:13568
	s_waitcnt lgkmcnt(2)
	v_dot4c_i32_i8 v43, v68, v84
	v_dot4c_i32_i8 v54, v68, v85
	v_dot4c_i32_i8 v55, v68, v86
	v_dot4c_i32_i8 v47, v68, v87
	v_dot4c_i32_i8 v26, v69, v84
	v_dot4c_i32_i8 v33, v69, v85
	v_dot4c_i32_i8 v34, v69, v86
	v_dot4c_i32_i8 v28, v69, v87
	v_dot4c_i32_i8 v27, v70, v84
	v_dot4c_i32_i8 v31, v70, v85
	v_dot4c_i32_i8 v32, v70, v86
	v_dot4c_i32_i8 v29, v70, v87
	v_dot4c_i32_i8 v14, v71, v84
	v_dot4c_i32_i8 v17, v71, v85
	v_dot4c_i32_i8 v18, v71, v86
	v_dot4c_i32_i8 v15, v71, v87
	ds_read_b128 v[80:83], v67 offset:30208
	s_waitcnt lgkmcnt(2)
	v_dot4c_i32_i8 v57, v68, v76
	v_dot4c_i32_i8 v62, v68, v77
	v_dot4c_i32_i8 v63, v68, v78
	v_dot4c_i32_i8 v61, v68, v79
	v_dot4c_i32_i8 v52, v69, v76
	v_dot4c_i32_i8 v58, v69, v77
	v_dot4c_i32_i8 v59, v69, v78
	v_dot4c_i32_i8 v53, v69, v79
	v_dot4c_i32_i8 v30, v70, v76
	v_dot4c_i32_i8 v44, v70, v77
	v_dot4c_i32_i8 v41, v70, v78
	v_dot4c_i32_i8 v36, v70, v79
	v_dot4c_i32_i8 v35, v71, v76
	v_dot4c_i32_i8 v39, v71, v77
	;; [unrolled: 18-line block ×3, first 2 shown]
	v_dot4c_i32_i8 v46, v75, v86
	v_dot4c_i32_i8 v42, v75, v87
	v_dot4c_i32_i8 v7, v72, v76
	v_dot4c_i32_i8 v12, v72, v77
	v_dot4c_i32_i8 v13, v72, v78
	v_dot4c_i32_i8 v9, v72, v79
	v_dot4c_i32_i8 v19, v73, v76
	v_dot4c_i32_i8 v24, v73, v77
	v_dot4c_i32_i8 v25, v73, v78
	v_dot4c_i32_i8 v21, v73, v79
	v_dot4c_i32_i8 v0, v74, v76
	v_dot4c_i32_i8 v49, v74, v77
	v_dot4c_i32_i8 v50, v74, v78
	v_dot4c_i32_i8 v48, v74, v79
	v_dot4c_i32_i8 v51, v75, v76
	v_dot4c_i32_i8 v56, v75, v77
	ds_read_b128 v[84:87], v67 offset:30464
	v_dot4c_i32_i8 v60, v75, v78
	v_dot4c_i32_i8 v1, v75, v79
	ds_read_b128 v[72:75], v66 offset:14080
	s_waitcnt lgkmcnt(2)
	v_dot4c_i32_i8 v43, v68, v80
	v_dot4c_i32_i8 v54, v68, v81
	v_dot4c_i32_i8 v55, v68, v82
	v_dot4c_i32_i8 v47, v68, v83
	v_dot4c_i32_i8 v26, v69, v80
	v_dot4c_i32_i8 v33, v69, v81
	v_dot4c_i32_i8 v34, v69, v82
	v_dot4c_i32_i8 v28, v69, v83
	v_dot4c_i32_i8 v27, v70, v80
	v_dot4c_i32_i8 v31, v70, v81
	v_dot4c_i32_i8 v32, v70, v82
	v_dot4c_i32_i8 v29, v70, v83
	v_dot4c_i32_i8 v14, v71, v80
	v_dot4c_i32_i8 v17, v71, v81
	v_dot4c_i32_i8 v18, v71, v82
	v_dot4c_i32_i8 v15, v71, v83
	ds_read_b128 v[76:79], v67 offset:30720
	s_waitcnt lgkmcnt(2)
	v_dot4c_i32_i8 v57, v68, v84
	v_dot4c_i32_i8 v62, v68, v85
	v_dot4c_i32_i8 v63, v68, v86
	v_dot4c_i32_i8 v61, v68, v87
	v_dot4c_i32_i8 v52, v69, v84
	v_dot4c_i32_i8 v58, v69, v85
	v_dot4c_i32_i8 v59, v69, v86
	v_dot4c_i32_i8 v53, v69, v87
	v_dot4c_i32_i8 v30, v70, v84
	v_dot4c_i32_i8 v44, v70, v85
	v_dot4c_i32_i8 v41, v70, v86
	v_dot4c_i32_i8 v36, v70, v87
	v_dot4c_i32_i8 v35, v71, v84
	v_dot4c_i32_i8 v39, v71, v85
	;; [unrolled: 18-line block ×3, first 2 shown]
	v_dot4c_i32_i8 v46, v75, v82
	v_dot4c_i32_i8 v42, v75, v83
	;; [unrolled: 1-line block ×16, first 2 shown]
	ds_read_b128 v[80:83], v67 offset:30976
	v_dot4c_i32_i8 v60, v75, v86
	v_dot4c_i32_i8 v1, v75, v87
	ds_read_b128 v[72:75], v66 offset:14592
	s_waitcnt lgkmcnt(2)
	v_dot4c_i32_i8 v43, v68, v76
	v_dot4c_i32_i8 v54, v68, v77
	v_dot4c_i32_i8 v55, v68, v78
	v_dot4c_i32_i8 v47, v68, v79
	v_dot4c_i32_i8 v26, v69, v76
	v_dot4c_i32_i8 v33, v69, v77
	v_dot4c_i32_i8 v34, v69, v78
	v_dot4c_i32_i8 v28, v69, v79
	v_dot4c_i32_i8 v27, v70, v76
	v_dot4c_i32_i8 v31, v70, v77
	v_dot4c_i32_i8 v32, v70, v78
	v_dot4c_i32_i8 v29, v70, v79
	v_dot4c_i32_i8 v14, v71, v76
	v_dot4c_i32_i8 v17, v71, v77
	v_dot4c_i32_i8 v18, v71, v78
	v_dot4c_i32_i8 v15, v71, v79
	ds_read_b128 v[84:87], v67 offset:31232
	s_waitcnt lgkmcnt(2)
	v_dot4c_i32_i8 v57, v68, v80
	v_dot4c_i32_i8 v62, v68, v81
	v_dot4c_i32_i8 v63, v68, v82
	v_dot4c_i32_i8 v61, v68, v83
	v_dot4c_i32_i8 v52, v69, v80
	v_dot4c_i32_i8 v58, v69, v81
	v_dot4c_i32_i8 v59, v69, v82
	v_dot4c_i32_i8 v53, v69, v83
	v_dot4c_i32_i8 v30, v70, v80
	v_dot4c_i32_i8 v44, v70, v81
	v_dot4c_i32_i8 v41, v70, v82
	v_dot4c_i32_i8 v36, v70, v83
	v_dot4c_i32_i8 v35, v71, v80
	v_dot4c_i32_i8 v39, v71, v81
	;; [unrolled: 18-line block ×3, first 2 shown]
	v_dot4c_i32_i8 v46, v75, v78
	v_dot4c_i32_i8 v42, v75, v79
	;; [unrolled: 1-line block ×16, first 2 shown]
	ds_read_b128 v[76:79], v67 offset:31488
	v_dot4c_i32_i8 v60, v75, v82
	v_dot4c_i32_i8 v1, v75, v83
	ds_read_b128 v[72:75], v66 offset:15104
	s_waitcnt lgkmcnt(2)
	v_dot4c_i32_i8 v43, v68, v84
	v_dot4c_i32_i8 v54, v68, v85
	v_dot4c_i32_i8 v55, v68, v86
	v_dot4c_i32_i8 v47, v68, v87
	v_dot4c_i32_i8 v26, v69, v84
	v_dot4c_i32_i8 v33, v69, v85
	v_dot4c_i32_i8 v34, v69, v86
	v_dot4c_i32_i8 v28, v69, v87
	v_dot4c_i32_i8 v27, v70, v84
	v_dot4c_i32_i8 v31, v70, v85
	v_dot4c_i32_i8 v32, v70, v86
	v_dot4c_i32_i8 v29, v70, v87
	v_dot4c_i32_i8 v14, v71, v84
	v_dot4c_i32_i8 v17, v71, v85
	v_dot4c_i32_i8 v18, v71, v86
	v_dot4c_i32_i8 v15, v71, v87
	ds_read_b128 v[80:83], v67 offset:31744
	s_waitcnt lgkmcnt(2)
	v_dot4c_i32_i8 v57, v68, v76
	v_dot4c_i32_i8 v62, v68, v77
	v_dot4c_i32_i8 v63, v68, v78
	v_dot4c_i32_i8 v61, v68, v79
	v_dot4c_i32_i8 v52, v69, v76
	v_dot4c_i32_i8 v58, v69, v77
	v_dot4c_i32_i8 v59, v69, v78
	v_dot4c_i32_i8 v53, v69, v79
	v_dot4c_i32_i8 v30, v70, v76
	v_dot4c_i32_i8 v44, v70, v77
	v_dot4c_i32_i8 v41, v70, v78
	v_dot4c_i32_i8 v36, v70, v79
	v_dot4c_i32_i8 v35, v71, v76
	v_dot4c_i32_i8 v39, v71, v77
	;; [unrolled: 18-line block ×3, first 2 shown]
	v_dot4c_i32_i8 v46, v75, v86
	v_dot4c_i32_i8 v42, v75, v87
	ds_read_b128 v[84:87], v67 offset:32000
	v_dot4c_i32_i8 v7, v72, v76
	v_dot4c_i32_i8 v12, v72, v77
	;; [unrolled: 1-line block ×16, first 2 shown]
	ds_read_b128 v[72:75], v66 offset:15616
	s_waitcnt lgkmcnt(2)
	v_dot4c_i32_i8 v43, v68, v80
	v_dot4c_i32_i8 v54, v68, v81
	v_dot4c_i32_i8 v55, v68, v82
	v_dot4c_i32_i8 v47, v68, v83
	v_dot4c_i32_i8 v26, v69, v80
	v_dot4c_i32_i8 v33, v69, v81
	v_dot4c_i32_i8 v34, v69, v82
	v_dot4c_i32_i8 v28, v69, v83
	v_dot4c_i32_i8 v27, v70, v80
	v_dot4c_i32_i8 v31, v70, v81
	v_dot4c_i32_i8 v32, v70, v82
	v_dot4c_i32_i8 v29, v70, v83
	v_dot4c_i32_i8 v14, v71, v80
	v_dot4c_i32_i8 v17, v71, v81
	v_dot4c_i32_i8 v18, v71, v82
	v_dot4c_i32_i8 v15, v71, v83
	s_waitcnt lgkmcnt(1)
	v_dot4c_i32_i8 v57, v68, v84
	v_dot4c_i32_i8 v62, v68, v85
	;; [unrolled: 1-line block ×16, first 2 shown]
	ds_read_b128 v[68:71], v66 offset:15872
	ds_read_b128 v[76:79], v67 offset:32256
	s_waitcnt lgkmcnt(2)
	v_dot4c_i32_i8 v2, v72, v80
	v_dot4c_i32_i8 v4, v72, v81
	;; [unrolled: 1-line block ×16, first 2 shown]
	ds_read_b128 v[80:83], v67 offset:32512
	v_dot4c_i32_i8 v7, v72, v84
	v_dot4c_i32_i8 v12, v72, v85
	;; [unrolled: 1-line block ×16, first 2 shown]
	ds_read_b128 v[72:75], v66 offset:16128
	s_waitcnt lgkmcnt(2)
	v_dot4c_i32_i8 v54, v68, v77
	v_dot4c_i32_i8 v55, v68, v78
	s_waitcnt lgkmcnt(1)
	v_dot4c_i32_i8 v62, v68, v81
	v_dot4c_i32_i8 v63, v68, v82
	;; [unrolled: 1-line block ×4, first 2 shown]
	v_lshlrev_b32_e32 v54, 8, v54
	v_lshlrev_b32_e32 v55, 16, v55
	v_dot4c_i32_i8 v57, v68, v80
	v_dot4c_i32_i8 v61, v68, v83
	v_lshlrev_b32_e32 v62, 8, v62
	v_lshlrev_b32_e32 v63, 16, v63
	v_dot4c_i32_i8 v58, v69, v81
	v_dot4c_i32_i8 v59, v69, v82
	v_and_b32_e32 v54, 0xff00, v54
	v_and_b32_e32 v55, 0xff0000, v55
	v_perm_b32 v43, v47, v43, 0x40c0c00
	v_dot4c_i32_i8 v33, v69, v77
	v_dot4c_i32_i8 v34, v69, v78
	;; [unrolled: 1-line block ×4, first 2 shown]
	v_and_b32_e32 v47, 0xff00, v62
	v_and_b32_e32 v62, 0xff0000, v63
	v_perm_b32 v57, v61, v57, 0x40c0c00
	v_dot4c_i32_i8 v52, v69, v80
	v_dot4c_i32_i8 v53, v69, v83
	v_add3_u32 v61, s3, v64, v65
	v_or3_b32 v43, v43, v54, v55
	v_lshlrev_b32_e32 v54, 8, v58
	v_lshlrev_b32_e32 v55, 16, v59
	v_dot4c_i32_i8 v26, v69, v76
	v_dot4c_i32_i8 v28, v69, v79
	;; [unrolled: 1-line block ×4, first 2 shown]
	v_or3_b32 v47, v57, v47, v62
	v_lshlrev_b32_e32 v33, 8, v33
	v_lshlrev_b32_e32 v34, 16, v34
	;; [unrolled: 1-line block ×4, first 2 shown]
	s_mov_b32 s3, s11
	buffer_store_dword v43, v61, s[0:3], 0 offen
	buffer_store_dword v47, v61, s[0:3], 0 offen offset:64
	v_add_nc_u32_e32 v43, s7, v61
	v_and_b32_e32 v47, 0xff00, v54
	v_and_b32_e32 v54, 0xff0000, v55
	v_perm_b32 v52, v53, v52, 0x40c0c00
	v_dot4c_i32_i8 v44, v70, v81
	v_and_b32_e32 v33, 0xff00, v33
	v_and_b32_e32 v34, 0xff0000, v34
	v_perm_b32 v26, v28, v26, 0x40c0c00
	v_and_b32_e32 v28, 0xff00, v31
	v_and_b32_e32 v31, 0xff0000, v32
	v_perm_b32 v27, v29, v27, 0x40c0c00
	v_dot4c_i32_i8 v41, v70, v82
	v_add_nc_u32_e32 v29, 64, v43
	v_or3_b32 v32, v52, v47, v54
	v_dot4c_i32_i8 v39, v71, v81
	v_dot4c_i32_i8 v40, v71, v82
	v_or3_b32 v26, v26, v33, v34
	v_add_nc_u32_e32 v33, s7, v43
	v_or3_b32 v27, v27, v28, v31
	v_lshlrev_b32_e32 v28, 8, v44
	v_dot4c_i32_i8 v30, v70, v80
	v_dot4c_i32_i8 v36, v70, v83
	buffer_store_dword v32, v29, s[0:3], 0 offen
	buffer_store_dword v26, v43, s[0:3], 0 offen
	v_lshlrev_b32_e32 v26, 16, v41
	v_dot4c_i32_i8 v17, v71, v77
	v_dot4c_i32_i8 v18, v71, v78
	;; [unrolled: 1-line block ×4, first 2 shown]
	buffer_store_dword v27, v33, s[0:3], 0 offen
	v_and_b32_e32 v27, 0xff00, v28
	v_lshlrev_b32_e32 v28, 8, v39
	v_lshlrev_b32_e32 v29, 16, v40
	v_and_b32_e32 v26, 0xff0000, v26
	v_perm_b32 v30, v36, v30, 0x40c0c00
	v_dot4c_i32_i8 v14, v71, v76
	v_dot4c_i32_i8 v15, v71, v79
	v_add_nc_u32_e32 v31, 64, v33
	v_and_b32_e32 v28, 0xff00, v28
	v_and_b32_e32 v29, 0xff0000, v29
	v_perm_b32 v32, v37, v35, 0x40c0c00
	v_lshlrev_b32_e32 v17, 8, v17
	v_lshlrev_b32_e32 v18, 16, v18
	s_waitcnt lgkmcnt(0)
	v_dot4c_i32_i8 v45, v75, v77
	v_dot4c_i32_i8 v46, v75, v78
	v_or3_b32 v26, v30, v27, v26
	v_add_nc_u32_e32 v27, s7, v31
	v_or3_b32 v28, v32, v28, v29
	v_and_b32_e32 v17, 0xff00, v17
	v_and_b32_e32 v18, 0xff0000, v18
	v_perm_b32 v14, v15, v14, 0x40c0c00
	v_dot4c_i32_i8 v38, v75, v76
	v_dot4c_i32_i8 v42, v75, v79
	buffer_store_dword v26, v33, s[0:3], 0 offen offset:64
	v_lshlrev_b32_e32 v15, 8, v45
	v_lshlrev_b32_e32 v26, 16, v46
	v_dot4c_i32_i8 v56, v75, v81
	v_dot4c_i32_i8 v60, v75, v82
	buffer_store_dword v28, v27, s[0:3], 0 offen
	v_add_nc_u32_e32 v27, s7, v33
	v_or3_b32 v14, v14, v17, v18
	v_dot4c_i32_i8 v49, v74, v81
	v_dot4c_i32_i8 v50, v74, v82
	v_and_b32_e32 v15, 0xff00, v15
	v_and_b32_e32 v17, 0xff0000, v26
	v_perm_b32 v18, v42, v38, 0x40c0c00
	v_dot4c_i32_i8 v51, v75, v80
	v_dot4c_i32_i8 v1, v75, v83
	buffer_store_dword v14, v27, s[0:3], 0 offen
	v_add_nc_u32_e32 v14, s4, v27
	v_lshlrev_b32_e32 v26, 8, v56
	v_lshlrev_b32_e32 v27, 16, v60
	v_dot4c_i32_i8 v22, v74, v77
	v_dot4c_i32_i8 v23, v74, v78
	;; [unrolled: 1-line block ×4, first 2 shown]
	v_or3_b32 v15, v18, v15, v17
	v_lshlrev_b32_e32 v17, 8, v49
	v_lshlrev_b32_e32 v18, 16, v50
	v_and_b32_e32 v26, 0xff00, v26
	v_and_b32_e32 v27, 0xff0000, v27
	v_perm_b32 v1, v1, v51, 0x40c0c00
	v_dot4c_i32_i8 v16, v74, v76
	v_dot4c_i32_i8 v20, v74, v79
	v_and_b32_e32 v17, 0xff00, v17
	v_and_b32_e32 v18, 0xff0000, v18
	v_perm_b32 v0, v48, v0, 0x40c0c00
	v_lshlrev_b32_e32 v22, 8, v22
	v_lshlrev_b32_e32 v23, 16, v23
	v_or3_b32 v1, v1, v26, v27
	v_add_nc_u32_e32 v26, s4, v31
	v_dot4c_i32_i8 v10, v73, v77
	v_dot4c_i32_i8 v11, v73, v78
	;; [unrolled: 1-line block ×4, first 2 shown]
	v_or3_b32 v0, v0, v17, v18
	v_and_b32_e32 v17, 0xff00, v22
	v_and_b32_e32 v18, 0xff0000, v23
	v_perm_b32 v16, v20, v16, 0x40c0c00
	v_dot4c_i32_i8 v12, v72, v81
	v_dot4c_i32_i8 v13, v72, v82
	buffer_store_dword v15, v14, s[0:3], 0 offen
	buffer_store_dword v1, v14, s[0:3], 0 offen offset:64
	v_subrev_nc_u32_e32 v1, 64, v26
	v_dot4c_i32_i8 v4, v72, v77
	v_dot4c_i32_i8 v5, v72, v78
	;; [unrolled: 1-line block ×4, first 2 shown]
	v_lshlrev_b32_e32 v10, 8, v10
	v_lshlrev_b32_e32 v11, 16, v11
	v_dot4c_i32_i8 v19, v73, v80
	v_dot4c_i32_i8 v21, v73, v83
	buffer_store_dword v0, v26, s[0:3], 0 offen
	v_or3_b32 v0, v16, v17, v18
	v_lshlrev_b32_e32 v15, 8, v24
	v_lshlrev_b32_e32 v16, 16, v25
	v_dot4c_i32_i8 v7, v72, v80
	v_dot4c_i32_i8 v9, v72, v83
	v_subrev_nc_u32_e32 v14, s7, v1
	v_lshlrev_b32_e32 v12, 8, v12
	v_lshlrev_b32_e32 v13, 16, v13
	v_dot4c_i32_i8 v2, v72, v76
	v_dot4c_i32_i8 v3, v72, v79
	v_lshlrev_b32_e32 v4, 8, v4
	v_lshlrev_b32_e32 v5, 16, v5
	v_and_b32_e32 v10, 0xff00, v10
	v_and_b32_e32 v11, 0xff0000, v11
	v_perm_b32 v6, v8, v6, 0x40c0c00
	v_and_b32_e32 v8, 0xff00, v15
	v_and_b32_e32 v15, 0xff0000, v16
	v_perm_b32 v16, v21, v19, 0x40c0c00
	v_subrev_nc_u32_e32 v17, s7, v14
	v_and_b32_e32 v12, 0xff00, v12
	v_and_b32_e32 v13, 0xff0000, v13
	v_perm_b32 v7, v9, v7, 0x40c0c00
	v_and_b32_e32 v4, 0xff00, v4
	v_and_b32_e32 v5, 0xff0000, v5
	v_perm_b32 v2, v3, v2, 0x40c0c00
	v_or3_b32 v3, v6, v10, v11
	v_or3_b32 v6, v16, v8, v15
	v_add_nc_u32_e32 v8, 64, v17
	v_or3_b32 v7, v7, v12, v13
	v_or3_b32 v2, v2, v4, v5
	buffer_store_dword v0, v1, s[0:3], 0 offen
	buffer_store_dword v3, v14, s[0:3], 0 offen
	buffer_store_dword v6, v14, s[0:3], 0 offen offset:64
	buffer_store_dword v7, v8, s[0:3], 0 offen
	buffer_store_dword v2, v17, s[0:3], 0 offen
	s_endpgm
	.section	.rodata,"a",@progbits
	.p2align	6, 0x0
	.amdhsa_kernel _ZN2ck19kernel_gemm_dl_v1r3INS_28GridwiseGemmDl_km_kn_mn_v1r3ILi256EaiaLNS_25InMemoryDataOperationEnumE0ENS_16TensorDescriptorINS_5TupleIJNS_5EmbedINS4_IJiiEEENS4_IJNS_17integral_constantIiLi1EEEiEEELb0EEENS_7UnMergeINS4_IJiNS7_IiLi4EEEEEELb0EEENS_11PassThroughIiEEEEENS4_IJNS_8SequenceIJLi0EEEENSI_IJLi2EEEENSI_IJLi1EEEEEEENS4_IJNSI_IJLi1ELi2EEEENSI_IJLi3ELi4EEEENSI_IJLi5EEEEEEENSI_IJLi3ELi5ELi4EEEElEENS3_INS4_IJNS5_IS6_NS4_IJiS8_EEELb0EEESE_SG_EEENS4_IJSJ_SL_SK_EEESQ_SR_lEENS3_INS4_IJSU_SG_SG_EEESW_NS4_IJSN_NSI_IJLi3EEEENSI_IJLi4EEEEEEESO_lEELi128ELi128ELi16ELi4ELi4ELi4ELi1ENSI_IJLi8ELi2EEEES13_NSI_IJLi2ELi1ELi4ELi4EEEENSI_IJLi8ELi1ELi32ELi1EEEENSI_IJLi0ELi3ELi1ELi2EEEES16_NSI_IJLi1ELi1ELi4ELi1EEEES16_NSI_IJLi1ELi1ELi4ELi4EEEES14_S15_S16_S16_S17_S16_S18_NSI_IJLi0ELi1ELi2ELi3ELi4ELi5EEEELi5ELi4EEEaaNS3_INS4_IJSA_SE_SG_SG_NSB_INS4_IJiNS7_IiLi128EEEEEELb0EEENSF_ISC_EEEEENS4_IJSJ_SK_SL_SZ_SP_S10_EEENS4_IJSN_SO_SP_NSI_IJLi6EEEENSI_IJLi7ELi8EEEENSI_IJLi9EEEEEEENSI_IJLi6ELi7ELi8ELi9EEEElEENS3_INS4_IJSU_SE_SG_SG_S1D_S1E_EEENS4_IJSJ_SL_SK_SZ_SP_S10_EEES1K_S1L_lEENS3_INS4_IJSU_SG_SG_NSB_INS4_IJiNS7_IiLi2EEENS7_IiLi64EEEEEELb0EEES1T_EEENS4_IJSJ_SL_SK_SZ_S10_EEENS4_IJSN_SZ_S10_NSI_IJLi5ELi6ELi7EEEENSI_IJLi8ELi9ELi10EEEEEEENSI_IJLi5ELi6ELi7ELi8ELi9ELi10EEEElEENS_31BlockToCTileMap_M00_N00_M01_N01ILi128ELi128ES12_Lb0EEELb0ELb1EEEvPKT0_S25_PT1_T2_T3_T4_T5_
		.amdhsa_group_segment_fixed_size 32768
		.amdhsa_private_segment_fixed_size 0
		.amdhsa_kernarg_size 328
		.amdhsa_user_sgpr_count 6
		.amdhsa_user_sgpr_private_segment_buffer 1
		.amdhsa_user_sgpr_dispatch_ptr 0
		.amdhsa_user_sgpr_queue_ptr 0
		.amdhsa_user_sgpr_kernarg_segment_ptr 1
		.amdhsa_user_sgpr_dispatch_id 0
		.amdhsa_user_sgpr_flat_scratch_init 0
		.amdhsa_user_sgpr_private_segment_size 0
		.amdhsa_wavefront_size32 1
		.amdhsa_uses_dynamic_stack 0
		.amdhsa_system_sgpr_private_segment_wavefront_offset 0
		.amdhsa_system_sgpr_workgroup_id_x 1
		.amdhsa_system_sgpr_workgroup_id_y 0
		.amdhsa_system_sgpr_workgroup_id_z 0
		.amdhsa_system_sgpr_workgroup_info 0
		.amdhsa_system_vgpr_workitem_id 0
		.amdhsa_next_free_vgpr 121
		.amdhsa_next_free_sgpr 35
		.amdhsa_reserve_vcc 0
		.amdhsa_reserve_flat_scratch 0
		.amdhsa_float_round_mode_32 0
		.amdhsa_float_round_mode_16_64 0
		.amdhsa_float_denorm_mode_32 3
		.amdhsa_float_denorm_mode_16_64 3
		.amdhsa_dx10_clamp 1
		.amdhsa_ieee_mode 1
		.amdhsa_fp16_overflow 0
		.amdhsa_workgroup_processor_mode 1
		.amdhsa_memory_ordered 1
		.amdhsa_forward_progress 1
		.amdhsa_shared_vgpr_count 0
		.amdhsa_exception_fp_ieee_invalid_op 0
		.amdhsa_exception_fp_denorm_src 0
		.amdhsa_exception_fp_ieee_div_zero 0
		.amdhsa_exception_fp_ieee_overflow 0
		.amdhsa_exception_fp_ieee_underflow 0
		.amdhsa_exception_fp_ieee_inexact 0
		.amdhsa_exception_int_div_zero 0
	.end_amdhsa_kernel
	.section	.text._ZN2ck19kernel_gemm_dl_v1r3INS_28GridwiseGemmDl_km_kn_mn_v1r3ILi256EaiaLNS_25InMemoryDataOperationEnumE0ENS_16TensorDescriptorINS_5TupleIJNS_5EmbedINS4_IJiiEEENS4_IJNS_17integral_constantIiLi1EEEiEEELb0EEENS_7UnMergeINS4_IJiNS7_IiLi4EEEEEELb0EEENS_11PassThroughIiEEEEENS4_IJNS_8SequenceIJLi0EEEENSI_IJLi2EEEENSI_IJLi1EEEEEEENS4_IJNSI_IJLi1ELi2EEEENSI_IJLi3ELi4EEEENSI_IJLi5EEEEEEENSI_IJLi3ELi5ELi4EEEElEENS3_INS4_IJNS5_IS6_NS4_IJiS8_EEELb0EEESE_SG_EEENS4_IJSJ_SL_SK_EEESQ_SR_lEENS3_INS4_IJSU_SG_SG_EEESW_NS4_IJSN_NSI_IJLi3EEEENSI_IJLi4EEEEEEESO_lEELi128ELi128ELi16ELi4ELi4ELi4ELi1ENSI_IJLi8ELi2EEEES13_NSI_IJLi2ELi1ELi4ELi4EEEENSI_IJLi8ELi1ELi32ELi1EEEENSI_IJLi0ELi3ELi1ELi2EEEES16_NSI_IJLi1ELi1ELi4ELi1EEEES16_NSI_IJLi1ELi1ELi4ELi4EEEES14_S15_S16_S16_S17_S16_S18_NSI_IJLi0ELi1ELi2ELi3ELi4ELi5EEEELi5ELi4EEEaaNS3_INS4_IJSA_SE_SG_SG_NSB_INS4_IJiNS7_IiLi128EEEEEELb0EEENSF_ISC_EEEEENS4_IJSJ_SK_SL_SZ_SP_S10_EEENS4_IJSN_SO_SP_NSI_IJLi6EEEENSI_IJLi7ELi8EEEENSI_IJLi9EEEEEEENSI_IJLi6ELi7ELi8ELi9EEEElEENS3_INS4_IJSU_SE_SG_SG_S1D_S1E_EEENS4_IJSJ_SL_SK_SZ_SP_S10_EEES1K_S1L_lEENS3_INS4_IJSU_SG_SG_NSB_INS4_IJiNS7_IiLi2EEENS7_IiLi64EEEEEELb0EEES1T_EEENS4_IJSJ_SL_SK_SZ_S10_EEENS4_IJSN_SZ_S10_NSI_IJLi5ELi6ELi7EEEENSI_IJLi8ELi9ELi10EEEEEEENSI_IJLi5ELi6ELi7ELi8ELi9ELi10EEEElEENS_31BlockToCTileMap_M00_N00_M01_N01ILi128ELi128ES12_Lb0EEELb0ELb1EEEvPKT0_S25_PT1_T2_T3_T4_T5_,"axG",@progbits,_ZN2ck19kernel_gemm_dl_v1r3INS_28GridwiseGemmDl_km_kn_mn_v1r3ILi256EaiaLNS_25InMemoryDataOperationEnumE0ENS_16TensorDescriptorINS_5TupleIJNS_5EmbedINS4_IJiiEEENS4_IJNS_17integral_constantIiLi1EEEiEEELb0EEENS_7UnMergeINS4_IJiNS7_IiLi4EEEEEELb0EEENS_11PassThroughIiEEEEENS4_IJNS_8SequenceIJLi0EEEENSI_IJLi2EEEENSI_IJLi1EEEEEEENS4_IJNSI_IJLi1ELi2EEEENSI_IJLi3ELi4EEEENSI_IJLi5EEEEEEENSI_IJLi3ELi5ELi4EEEElEENS3_INS4_IJNS5_IS6_NS4_IJiS8_EEELb0EEESE_SG_EEENS4_IJSJ_SL_SK_EEESQ_SR_lEENS3_INS4_IJSU_SG_SG_EEESW_NS4_IJSN_NSI_IJLi3EEEENSI_IJLi4EEEEEEESO_lEELi128ELi128ELi16ELi4ELi4ELi4ELi1ENSI_IJLi8ELi2EEEES13_NSI_IJLi2ELi1ELi4ELi4EEEENSI_IJLi8ELi1ELi32ELi1EEEENSI_IJLi0ELi3ELi1ELi2EEEES16_NSI_IJLi1ELi1ELi4ELi1EEEES16_NSI_IJLi1ELi1ELi4ELi4EEEES14_S15_S16_S16_S17_S16_S18_NSI_IJLi0ELi1ELi2ELi3ELi4ELi5EEEELi5ELi4EEEaaNS3_INS4_IJSA_SE_SG_SG_NSB_INS4_IJiNS7_IiLi128EEEEEELb0EEENSF_ISC_EEEEENS4_IJSJ_SK_SL_SZ_SP_S10_EEENS4_IJSN_SO_SP_NSI_IJLi6EEEENSI_IJLi7ELi8EEEENSI_IJLi9EEEEEEENSI_IJLi6ELi7ELi8ELi9EEEElEENS3_INS4_IJSU_SE_SG_SG_S1D_S1E_EEENS4_IJSJ_SL_SK_SZ_SP_S10_EEES1K_S1L_lEENS3_INS4_IJSU_SG_SG_NSB_INS4_IJiNS7_IiLi2EEENS7_IiLi64EEEEEELb0EEES1T_EEENS4_IJSJ_SL_SK_SZ_S10_EEENS4_IJSN_SZ_S10_NSI_IJLi5ELi6ELi7EEEENSI_IJLi8ELi9ELi10EEEEEEENSI_IJLi5ELi6ELi7ELi8ELi9ELi10EEEElEENS_31BlockToCTileMap_M00_N00_M01_N01ILi128ELi128ES12_Lb0EEELb0ELb1EEEvPKT0_S25_PT1_T2_T3_T4_T5_,comdat
.Lfunc_end3:
	.size	_ZN2ck19kernel_gemm_dl_v1r3INS_28GridwiseGemmDl_km_kn_mn_v1r3ILi256EaiaLNS_25InMemoryDataOperationEnumE0ENS_16TensorDescriptorINS_5TupleIJNS_5EmbedINS4_IJiiEEENS4_IJNS_17integral_constantIiLi1EEEiEEELb0EEENS_7UnMergeINS4_IJiNS7_IiLi4EEEEEELb0EEENS_11PassThroughIiEEEEENS4_IJNS_8SequenceIJLi0EEEENSI_IJLi2EEEENSI_IJLi1EEEEEEENS4_IJNSI_IJLi1ELi2EEEENSI_IJLi3ELi4EEEENSI_IJLi5EEEEEEENSI_IJLi3ELi5ELi4EEEElEENS3_INS4_IJNS5_IS6_NS4_IJiS8_EEELb0EEESE_SG_EEENS4_IJSJ_SL_SK_EEESQ_SR_lEENS3_INS4_IJSU_SG_SG_EEESW_NS4_IJSN_NSI_IJLi3EEEENSI_IJLi4EEEEEEESO_lEELi128ELi128ELi16ELi4ELi4ELi4ELi1ENSI_IJLi8ELi2EEEES13_NSI_IJLi2ELi1ELi4ELi4EEEENSI_IJLi8ELi1ELi32ELi1EEEENSI_IJLi0ELi3ELi1ELi2EEEES16_NSI_IJLi1ELi1ELi4ELi1EEEES16_NSI_IJLi1ELi1ELi4ELi4EEEES14_S15_S16_S16_S17_S16_S18_NSI_IJLi0ELi1ELi2ELi3ELi4ELi5EEEELi5ELi4EEEaaNS3_INS4_IJSA_SE_SG_SG_NSB_INS4_IJiNS7_IiLi128EEEEEELb0EEENSF_ISC_EEEEENS4_IJSJ_SK_SL_SZ_SP_S10_EEENS4_IJSN_SO_SP_NSI_IJLi6EEEENSI_IJLi7ELi8EEEENSI_IJLi9EEEEEEENSI_IJLi6ELi7ELi8ELi9EEEElEENS3_INS4_IJSU_SE_SG_SG_S1D_S1E_EEENS4_IJSJ_SL_SK_SZ_SP_S10_EEES1K_S1L_lEENS3_INS4_IJSU_SG_SG_NSB_INS4_IJiNS7_IiLi2EEENS7_IiLi64EEEEEELb0EEES1T_EEENS4_IJSJ_SL_SK_SZ_S10_EEENS4_IJSN_SZ_S10_NSI_IJLi5ELi6ELi7EEEENSI_IJLi8ELi9ELi10EEEEEEENSI_IJLi5ELi6ELi7ELi8ELi9ELi10EEEElEENS_31BlockToCTileMap_M00_N00_M01_N01ILi128ELi128ES12_Lb0EEELb0ELb1EEEvPKT0_S25_PT1_T2_T3_T4_T5_, .Lfunc_end3-_ZN2ck19kernel_gemm_dl_v1r3INS_28GridwiseGemmDl_km_kn_mn_v1r3ILi256EaiaLNS_25InMemoryDataOperationEnumE0ENS_16TensorDescriptorINS_5TupleIJNS_5EmbedINS4_IJiiEEENS4_IJNS_17integral_constantIiLi1EEEiEEELb0EEENS_7UnMergeINS4_IJiNS7_IiLi4EEEEEELb0EEENS_11PassThroughIiEEEEENS4_IJNS_8SequenceIJLi0EEEENSI_IJLi2EEEENSI_IJLi1EEEEEEENS4_IJNSI_IJLi1ELi2EEEENSI_IJLi3ELi4EEEENSI_IJLi5EEEEEEENSI_IJLi3ELi5ELi4EEEElEENS3_INS4_IJNS5_IS6_NS4_IJiS8_EEELb0EEESE_SG_EEENS4_IJSJ_SL_SK_EEESQ_SR_lEENS3_INS4_IJSU_SG_SG_EEESW_NS4_IJSN_NSI_IJLi3EEEENSI_IJLi4EEEEEEESO_lEELi128ELi128ELi16ELi4ELi4ELi4ELi1ENSI_IJLi8ELi2EEEES13_NSI_IJLi2ELi1ELi4ELi4EEEENSI_IJLi8ELi1ELi32ELi1EEEENSI_IJLi0ELi3ELi1ELi2EEEES16_NSI_IJLi1ELi1ELi4ELi1EEEES16_NSI_IJLi1ELi1ELi4ELi4EEEES14_S15_S16_S16_S17_S16_S18_NSI_IJLi0ELi1ELi2ELi3ELi4ELi5EEEELi5ELi4EEEaaNS3_INS4_IJSA_SE_SG_SG_NSB_INS4_IJiNS7_IiLi128EEEEEELb0EEENSF_ISC_EEEEENS4_IJSJ_SK_SL_SZ_SP_S10_EEENS4_IJSN_SO_SP_NSI_IJLi6EEEENSI_IJLi7ELi8EEEENSI_IJLi9EEEEEEENSI_IJLi6ELi7ELi8ELi9EEEElEENS3_INS4_IJSU_SE_SG_SG_S1D_S1E_EEENS4_IJSJ_SL_SK_SZ_SP_S10_EEES1K_S1L_lEENS3_INS4_IJSU_SG_SG_NSB_INS4_IJiNS7_IiLi2EEENS7_IiLi64EEEEEELb0EEES1T_EEENS4_IJSJ_SL_SK_SZ_S10_EEENS4_IJSN_SZ_S10_NSI_IJLi5ELi6ELi7EEEENSI_IJLi8ELi9ELi10EEEEEEENSI_IJLi5ELi6ELi7ELi8ELi9ELi10EEEElEENS_31BlockToCTileMap_M00_N00_M01_N01ILi128ELi128ES12_Lb0EEELb0ELb1EEEvPKT0_S25_PT1_T2_T3_T4_T5_
                                        ; -- End function
	.set _ZN2ck19kernel_gemm_dl_v1r3INS_28GridwiseGemmDl_km_kn_mn_v1r3ILi256EaiaLNS_25InMemoryDataOperationEnumE0ENS_16TensorDescriptorINS_5TupleIJNS_5EmbedINS4_IJiiEEENS4_IJNS_17integral_constantIiLi1EEEiEEELb0EEENS_7UnMergeINS4_IJiNS7_IiLi4EEEEEELb0EEENS_11PassThroughIiEEEEENS4_IJNS_8SequenceIJLi0EEEENSI_IJLi2EEEENSI_IJLi1EEEEEEENS4_IJNSI_IJLi1ELi2EEEENSI_IJLi3ELi4EEEENSI_IJLi5EEEEEEENSI_IJLi3ELi5ELi4EEEElEENS3_INS4_IJNS5_IS6_NS4_IJiS8_EEELb0EEESE_SG_EEENS4_IJSJ_SL_SK_EEESQ_SR_lEENS3_INS4_IJSU_SG_SG_EEESW_NS4_IJSN_NSI_IJLi3EEEENSI_IJLi4EEEEEEESO_lEELi128ELi128ELi16ELi4ELi4ELi4ELi1ENSI_IJLi8ELi2EEEES13_NSI_IJLi2ELi1ELi4ELi4EEEENSI_IJLi8ELi1ELi32ELi1EEEENSI_IJLi0ELi3ELi1ELi2EEEES16_NSI_IJLi1ELi1ELi4ELi1EEEES16_NSI_IJLi1ELi1ELi4ELi4EEEES14_S15_S16_S16_S17_S16_S18_NSI_IJLi0ELi1ELi2ELi3ELi4ELi5EEEELi5ELi4EEEaaNS3_INS4_IJSA_SE_SG_SG_NSB_INS4_IJiNS7_IiLi128EEEEEELb0EEENSF_ISC_EEEEENS4_IJSJ_SK_SL_SZ_SP_S10_EEENS4_IJSN_SO_SP_NSI_IJLi6EEEENSI_IJLi7ELi8EEEENSI_IJLi9EEEEEEENSI_IJLi6ELi7ELi8ELi9EEEElEENS3_INS4_IJSU_SE_SG_SG_S1D_S1E_EEENS4_IJSJ_SL_SK_SZ_SP_S10_EEES1K_S1L_lEENS3_INS4_IJSU_SG_SG_NSB_INS4_IJiNS7_IiLi2EEENS7_IiLi64EEEEEELb0EEES1T_EEENS4_IJSJ_SL_SK_SZ_S10_EEENS4_IJSN_SZ_S10_NSI_IJLi5ELi6ELi7EEEENSI_IJLi8ELi9ELi10EEEEEEENSI_IJLi5ELi6ELi7ELi8ELi9ELi10EEEElEENS_31BlockToCTileMap_M00_N00_M01_N01ILi128ELi128ES12_Lb0EEELb0ELb1EEEvPKT0_S25_PT1_T2_T3_T4_T5_.num_vgpr, 121
	.set _ZN2ck19kernel_gemm_dl_v1r3INS_28GridwiseGemmDl_km_kn_mn_v1r3ILi256EaiaLNS_25InMemoryDataOperationEnumE0ENS_16TensorDescriptorINS_5TupleIJNS_5EmbedINS4_IJiiEEENS4_IJNS_17integral_constantIiLi1EEEiEEELb0EEENS_7UnMergeINS4_IJiNS7_IiLi4EEEEEELb0EEENS_11PassThroughIiEEEEENS4_IJNS_8SequenceIJLi0EEEENSI_IJLi2EEEENSI_IJLi1EEEEEEENS4_IJNSI_IJLi1ELi2EEEENSI_IJLi3ELi4EEEENSI_IJLi5EEEEEEENSI_IJLi3ELi5ELi4EEEElEENS3_INS4_IJNS5_IS6_NS4_IJiS8_EEELb0EEESE_SG_EEENS4_IJSJ_SL_SK_EEESQ_SR_lEENS3_INS4_IJSU_SG_SG_EEESW_NS4_IJSN_NSI_IJLi3EEEENSI_IJLi4EEEEEEESO_lEELi128ELi128ELi16ELi4ELi4ELi4ELi1ENSI_IJLi8ELi2EEEES13_NSI_IJLi2ELi1ELi4ELi4EEEENSI_IJLi8ELi1ELi32ELi1EEEENSI_IJLi0ELi3ELi1ELi2EEEES16_NSI_IJLi1ELi1ELi4ELi1EEEES16_NSI_IJLi1ELi1ELi4ELi4EEEES14_S15_S16_S16_S17_S16_S18_NSI_IJLi0ELi1ELi2ELi3ELi4ELi5EEEELi5ELi4EEEaaNS3_INS4_IJSA_SE_SG_SG_NSB_INS4_IJiNS7_IiLi128EEEEEELb0EEENSF_ISC_EEEEENS4_IJSJ_SK_SL_SZ_SP_S10_EEENS4_IJSN_SO_SP_NSI_IJLi6EEEENSI_IJLi7ELi8EEEENSI_IJLi9EEEEEEENSI_IJLi6ELi7ELi8ELi9EEEElEENS3_INS4_IJSU_SE_SG_SG_S1D_S1E_EEENS4_IJSJ_SL_SK_SZ_SP_S10_EEES1K_S1L_lEENS3_INS4_IJSU_SG_SG_NSB_INS4_IJiNS7_IiLi2EEENS7_IiLi64EEEEEELb0EEES1T_EEENS4_IJSJ_SL_SK_SZ_S10_EEENS4_IJSN_SZ_S10_NSI_IJLi5ELi6ELi7EEEENSI_IJLi8ELi9ELi10EEEEEEENSI_IJLi5ELi6ELi7ELi8ELi9ELi10EEEElEENS_31BlockToCTileMap_M00_N00_M01_N01ILi128ELi128ES12_Lb0EEELb0ELb1EEEvPKT0_S25_PT1_T2_T3_T4_T5_.num_agpr, 0
	.set _ZN2ck19kernel_gemm_dl_v1r3INS_28GridwiseGemmDl_km_kn_mn_v1r3ILi256EaiaLNS_25InMemoryDataOperationEnumE0ENS_16TensorDescriptorINS_5TupleIJNS_5EmbedINS4_IJiiEEENS4_IJNS_17integral_constantIiLi1EEEiEEELb0EEENS_7UnMergeINS4_IJiNS7_IiLi4EEEEEELb0EEENS_11PassThroughIiEEEEENS4_IJNS_8SequenceIJLi0EEEENSI_IJLi2EEEENSI_IJLi1EEEEEEENS4_IJNSI_IJLi1ELi2EEEENSI_IJLi3ELi4EEEENSI_IJLi5EEEEEEENSI_IJLi3ELi5ELi4EEEElEENS3_INS4_IJNS5_IS6_NS4_IJiS8_EEELb0EEESE_SG_EEENS4_IJSJ_SL_SK_EEESQ_SR_lEENS3_INS4_IJSU_SG_SG_EEESW_NS4_IJSN_NSI_IJLi3EEEENSI_IJLi4EEEEEEESO_lEELi128ELi128ELi16ELi4ELi4ELi4ELi1ENSI_IJLi8ELi2EEEES13_NSI_IJLi2ELi1ELi4ELi4EEEENSI_IJLi8ELi1ELi32ELi1EEEENSI_IJLi0ELi3ELi1ELi2EEEES16_NSI_IJLi1ELi1ELi4ELi1EEEES16_NSI_IJLi1ELi1ELi4ELi4EEEES14_S15_S16_S16_S17_S16_S18_NSI_IJLi0ELi1ELi2ELi3ELi4ELi5EEEELi5ELi4EEEaaNS3_INS4_IJSA_SE_SG_SG_NSB_INS4_IJiNS7_IiLi128EEEEEELb0EEENSF_ISC_EEEEENS4_IJSJ_SK_SL_SZ_SP_S10_EEENS4_IJSN_SO_SP_NSI_IJLi6EEEENSI_IJLi7ELi8EEEENSI_IJLi9EEEEEEENSI_IJLi6ELi7ELi8ELi9EEEElEENS3_INS4_IJSU_SE_SG_SG_S1D_S1E_EEENS4_IJSJ_SL_SK_SZ_SP_S10_EEES1K_S1L_lEENS3_INS4_IJSU_SG_SG_NSB_INS4_IJiNS7_IiLi2EEENS7_IiLi64EEEEEELb0EEES1T_EEENS4_IJSJ_SL_SK_SZ_S10_EEENS4_IJSN_SZ_S10_NSI_IJLi5ELi6ELi7EEEENSI_IJLi8ELi9ELi10EEEEEEENSI_IJLi5ELi6ELi7ELi8ELi9ELi10EEEElEENS_31BlockToCTileMap_M00_N00_M01_N01ILi128ELi128ES12_Lb0EEELb0ELb1EEEvPKT0_S25_PT1_T2_T3_T4_T5_.numbered_sgpr, 35
	.set _ZN2ck19kernel_gemm_dl_v1r3INS_28GridwiseGemmDl_km_kn_mn_v1r3ILi256EaiaLNS_25InMemoryDataOperationEnumE0ENS_16TensorDescriptorINS_5TupleIJNS_5EmbedINS4_IJiiEEENS4_IJNS_17integral_constantIiLi1EEEiEEELb0EEENS_7UnMergeINS4_IJiNS7_IiLi4EEEEEELb0EEENS_11PassThroughIiEEEEENS4_IJNS_8SequenceIJLi0EEEENSI_IJLi2EEEENSI_IJLi1EEEEEEENS4_IJNSI_IJLi1ELi2EEEENSI_IJLi3ELi4EEEENSI_IJLi5EEEEEEENSI_IJLi3ELi5ELi4EEEElEENS3_INS4_IJNS5_IS6_NS4_IJiS8_EEELb0EEESE_SG_EEENS4_IJSJ_SL_SK_EEESQ_SR_lEENS3_INS4_IJSU_SG_SG_EEESW_NS4_IJSN_NSI_IJLi3EEEENSI_IJLi4EEEEEEESO_lEELi128ELi128ELi16ELi4ELi4ELi4ELi1ENSI_IJLi8ELi2EEEES13_NSI_IJLi2ELi1ELi4ELi4EEEENSI_IJLi8ELi1ELi32ELi1EEEENSI_IJLi0ELi3ELi1ELi2EEEES16_NSI_IJLi1ELi1ELi4ELi1EEEES16_NSI_IJLi1ELi1ELi4ELi4EEEES14_S15_S16_S16_S17_S16_S18_NSI_IJLi0ELi1ELi2ELi3ELi4ELi5EEEELi5ELi4EEEaaNS3_INS4_IJSA_SE_SG_SG_NSB_INS4_IJiNS7_IiLi128EEEEEELb0EEENSF_ISC_EEEEENS4_IJSJ_SK_SL_SZ_SP_S10_EEENS4_IJSN_SO_SP_NSI_IJLi6EEEENSI_IJLi7ELi8EEEENSI_IJLi9EEEEEEENSI_IJLi6ELi7ELi8ELi9EEEElEENS3_INS4_IJSU_SE_SG_SG_S1D_S1E_EEENS4_IJSJ_SL_SK_SZ_SP_S10_EEES1K_S1L_lEENS3_INS4_IJSU_SG_SG_NSB_INS4_IJiNS7_IiLi2EEENS7_IiLi64EEEEEELb0EEES1T_EEENS4_IJSJ_SL_SK_SZ_S10_EEENS4_IJSN_SZ_S10_NSI_IJLi5ELi6ELi7EEEENSI_IJLi8ELi9ELi10EEEEEEENSI_IJLi5ELi6ELi7ELi8ELi9ELi10EEEElEENS_31BlockToCTileMap_M00_N00_M01_N01ILi128ELi128ES12_Lb0EEELb0ELb1EEEvPKT0_S25_PT1_T2_T3_T4_T5_.num_named_barrier, 0
	.set _ZN2ck19kernel_gemm_dl_v1r3INS_28GridwiseGemmDl_km_kn_mn_v1r3ILi256EaiaLNS_25InMemoryDataOperationEnumE0ENS_16TensorDescriptorINS_5TupleIJNS_5EmbedINS4_IJiiEEENS4_IJNS_17integral_constantIiLi1EEEiEEELb0EEENS_7UnMergeINS4_IJiNS7_IiLi4EEEEEELb0EEENS_11PassThroughIiEEEEENS4_IJNS_8SequenceIJLi0EEEENSI_IJLi2EEEENSI_IJLi1EEEEEEENS4_IJNSI_IJLi1ELi2EEEENSI_IJLi3ELi4EEEENSI_IJLi5EEEEEEENSI_IJLi3ELi5ELi4EEEElEENS3_INS4_IJNS5_IS6_NS4_IJiS8_EEELb0EEESE_SG_EEENS4_IJSJ_SL_SK_EEESQ_SR_lEENS3_INS4_IJSU_SG_SG_EEESW_NS4_IJSN_NSI_IJLi3EEEENSI_IJLi4EEEEEEESO_lEELi128ELi128ELi16ELi4ELi4ELi4ELi1ENSI_IJLi8ELi2EEEES13_NSI_IJLi2ELi1ELi4ELi4EEEENSI_IJLi8ELi1ELi32ELi1EEEENSI_IJLi0ELi3ELi1ELi2EEEES16_NSI_IJLi1ELi1ELi4ELi1EEEES16_NSI_IJLi1ELi1ELi4ELi4EEEES14_S15_S16_S16_S17_S16_S18_NSI_IJLi0ELi1ELi2ELi3ELi4ELi5EEEELi5ELi4EEEaaNS3_INS4_IJSA_SE_SG_SG_NSB_INS4_IJiNS7_IiLi128EEEEEELb0EEENSF_ISC_EEEEENS4_IJSJ_SK_SL_SZ_SP_S10_EEENS4_IJSN_SO_SP_NSI_IJLi6EEEENSI_IJLi7ELi8EEEENSI_IJLi9EEEEEEENSI_IJLi6ELi7ELi8ELi9EEEElEENS3_INS4_IJSU_SE_SG_SG_S1D_S1E_EEENS4_IJSJ_SL_SK_SZ_SP_S10_EEES1K_S1L_lEENS3_INS4_IJSU_SG_SG_NSB_INS4_IJiNS7_IiLi2EEENS7_IiLi64EEEEEELb0EEES1T_EEENS4_IJSJ_SL_SK_SZ_S10_EEENS4_IJSN_SZ_S10_NSI_IJLi5ELi6ELi7EEEENSI_IJLi8ELi9ELi10EEEEEEENSI_IJLi5ELi6ELi7ELi8ELi9ELi10EEEElEENS_31BlockToCTileMap_M00_N00_M01_N01ILi128ELi128ES12_Lb0EEELb0ELb1EEEvPKT0_S25_PT1_T2_T3_T4_T5_.private_seg_size, 0
	.set _ZN2ck19kernel_gemm_dl_v1r3INS_28GridwiseGemmDl_km_kn_mn_v1r3ILi256EaiaLNS_25InMemoryDataOperationEnumE0ENS_16TensorDescriptorINS_5TupleIJNS_5EmbedINS4_IJiiEEENS4_IJNS_17integral_constantIiLi1EEEiEEELb0EEENS_7UnMergeINS4_IJiNS7_IiLi4EEEEEELb0EEENS_11PassThroughIiEEEEENS4_IJNS_8SequenceIJLi0EEEENSI_IJLi2EEEENSI_IJLi1EEEEEEENS4_IJNSI_IJLi1ELi2EEEENSI_IJLi3ELi4EEEENSI_IJLi5EEEEEEENSI_IJLi3ELi5ELi4EEEElEENS3_INS4_IJNS5_IS6_NS4_IJiS8_EEELb0EEESE_SG_EEENS4_IJSJ_SL_SK_EEESQ_SR_lEENS3_INS4_IJSU_SG_SG_EEESW_NS4_IJSN_NSI_IJLi3EEEENSI_IJLi4EEEEEEESO_lEELi128ELi128ELi16ELi4ELi4ELi4ELi1ENSI_IJLi8ELi2EEEES13_NSI_IJLi2ELi1ELi4ELi4EEEENSI_IJLi8ELi1ELi32ELi1EEEENSI_IJLi0ELi3ELi1ELi2EEEES16_NSI_IJLi1ELi1ELi4ELi1EEEES16_NSI_IJLi1ELi1ELi4ELi4EEEES14_S15_S16_S16_S17_S16_S18_NSI_IJLi0ELi1ELi2ELi3ELi4ELi5EEEELi5ELi4EEEaaNS3_INS4_IJSA_SE_SG_SG_NSB_INS4_IJiNS7_IiLi128EEEEEELb0EEENSF_ISC_EEEEENS4_IJSJ_SK_SL_SZ_SP_S10_EEENS4_IJSN_SO_SP_NSI_IJLi6EEEENSI_IJLi7ELi8EEEENSI_IJLi9EEEEEEENSI_IJLi6ELi7ELi8ELi9EEEElEENS3_INS4_IJSU_SE_SG_SG_S1D_S1E_EEENS4_IJSJ_SL_SK_SZ_SP_S10_EEES1K_S1L_lEENS3_INS4_IJSU_SG_SG_NSB_INS4_IJiNS7_IiLi2EEENS7_IiLi64EEEEEELb0EEES1T_EEENS4_IJSJ_SL_SK_SZ_S10_EEENS4_IJSN_SZ_S10_NSI_IJLi5ELi6ELi7EEEENSI_IJLi8ELi9ELi10EEEEEEENSI_IJLi5ELi6ELi7ELi8ELi9ELi10EEEElEENS_31BlockToCTileMap_M00_N00_M01_N01ILi128ELi128ES12_Lb0EEELb0ELb1EEEvPKT0_S25_PT1_T2_T3_T4_T5_.uses_vcc, 0
	.set _ZN2ck19kernel_gemm_dl_v1r3INS_28GridwiseGemmDl_km_kn_mn_v1r3ILi256EaiaLNS_25InMemoryDataOperationEnumE0ENS_16TensorDescriptorINS_5TupleIJNS_5EmbedINS4_IJiiEEENS4_IJNS_17integral_constantIiLi1EEEiEEELb0EEENS_7UnMergeINS4_IJiNS7_IiLi4EEEEEELb0EEENS_11PassThroughIiEEEEENS4_IJNS_8SequenceIJLi0EEEENSI_IJLi2EEEENSI_IJLi1EEEEEEENS4_IJNSI_IJLi1ELi2EEEENSI_IJLi3ELi4EEEENSI_IJLi5EEEEEEENSI_IJLi3ELi5ELi4EEEElEENS3_INS4_IJNS5_IS6_NS4_IJiS8_EEELb0EEESE_SG_EEENS4_IJSJ_SL_SK_EEESQ_SR_lEENS3_INS4_IJSU_SG_SG_EEESW_NS4_IJSN_NSI_IJLi3EEEENSI_IJLi4EEEEEEESO_lEELi128ELi128ELi16ELi4ELi4ELi4ELi1ENSI_IJLi8ELi2EEEES13_NSI_IJLi2ELi1ELi4ELi4EEEENSI_IJLi8ELi1ELi32ELi1EEEENSI_IJLi0ELi3ELi1ELi2EEEES16_NSI_IJLi1ELi1ELi4ELi1EEEES16_NSI_IJLi1ELi1ELi4ELi4EEEES14_S15_S16_S16_S17_S16_S18_NSI_IJLi0ELi1ELi2ELi3ELi4ELi5EEEELi5ELi4EEEaaNS3_INS4_IJSA_SE_SG_SG_NSB_INS4_IJiNS7_IiLi128EEEEEELb0EEENSF_ISC_EEEEENS4_IJSJ_SK_SL_SZ_SP_S10_EEENS4_IJSN_SO_SP_NSI_IJLi6EEEENSI_IJLi7ELi8EEEENSI_IJLi9EEEEEEENSI_IJLi6ELi7ELi8ELi9EEEElEENS3_INS4_IJSU_SE_SG_SG_S1D_S1E_EEENS4_IJSJ_SL_SK_SZ_SP_S10_EEES1K_S1L_lEENS3_INS4_IJSU_SG_SG_NSB_INS4_IJiNS7_IiLi2EEENS7_IiLi64EEEEEELb0EEES1T_EEENS4_IJSJ_SL_SK_SZ_S10_EEENS4_IJSN_SZ_S10_NSI_IJLi5ELi6ELi7EEEENSI_IJLi8ELi9ELi10EEEEEEENSI_IJLi5ELi6ELi7ELi8ELi9ELi10EEEElEENS_31BlockToCTileMap_M00_N00_M01_N01ILi128ELi128ES12_Lb0EEELb0ELb1EEEvPKT0_S25_PT1_T2_T3_T4_T5_.uses_flat_scratch, 0
	.set _ZN2ck19kernel_gemm_dl_v1r3INS_28GridwiseGemmDl_km_kn_mn_v1r3ILi256EaiaLNS_25InMemoryDataOperationEnumE0ENS_16TensorDescriptorINS_5TupleIJNS_5EmbedINS4_IJiiEEENS4_IJNS_17integral_constantIiLi1EEEiEEELb0EEENS_7UnMergeINS4_IJiNS7_IiLi4EEEEEELb0EEENS_11PassThroughIiEEEEENS4_IJNS_8SequenceIJLi0EEEENSI_IJLi2EEEENSI_IJLi1EEEEEEENS4_IJNSI_IJLi1ELi2EEEENSI_IJLi3ELi4EEEENSI_IJLi5EEEEEEENSI_IJLi3ELi5ELi4EEEElEENS3_INS4_IJNS5_IS6_NS4_IJiS8_EEELb0EEESE_SG_EEENS4_IJSJ_SL_SK_EEESQ_SR_lEENS3_INS4_IJSU_SG_SG_EEESW_NS4_IJSN_NSI_IJLi3EEEENSI_IJLi4EEEEEEESO_lEELi128ELi128ELi16ELi4ELi4ELi4ELi1ENSI_IJLi8ELi2EEEES13_NSI_IJLi2ELi1ELi4ELi4EEEENSI_IJLi8ELi1ELi32ELi1EEEENSI_IJLi0ELi3ELi1ELi2EEEES16_NSI_IJLi1ELi1ELi4ELi1EEEES16_NSI_IJLi1ELi1ELi4ELi4EEEES14_S15_S16_S16_S17_S16_S18_NSI_IJLi0ELi1ELi2ELi3ELi4ELi5EEEELi5ELi4EEEaaNS3_INS4_IJSA_SE_SG_SG_NSB_INS4_IJiNS7_IiLi128EEEEEELb0EEENSF_ISC_EEEEENS4_IJSJ_SK_SL_SZ_SP_S10_EEENS4_IJSN_SO_SP_NSI_IJLi6EEEENSI_IJLi7ELi8EEEENSI_IJLi9EEEEEEENSI_IJLi6ELi7ELi8ELi9EEEElEENS3_INS4_IJSU_SE_SG_SG_S1D_S1E_EEENS4_IJSJ_SL_SK_SZ_SP_S10_EEES1K_S1L_lEENS3_INS4_IJSU_SG_SG_NSB_INS4_IJiNS7_IiLi2EEENS7_IiLi64EEEEEELb0EEES1T_EEENS4_IJSJ_SL_SK_SZ_S10_EEENS4_IJSN_SZ_S10_NSI_IJLi5ELi6ELi7EEEENSI_IJLi8ELi9ELi10EEEEEEENSI_IJLi5ELi6ELi7ELi8ELi9ELi10EEEElEENS_31BlockToCTileMap_M00_N00_M01_N01ILi128ELi128ES12_Lb0EEELb0ELb1EEEvPKT0_S25_PT1_T2_T3_T4_T5_.has_dyn_sized_stack, 0
	.set _ZN2ck19kernel_gemm_dl_v1r3INS_28GridwiseGemmDl_km_kn_mn_v1r3ILi256EaiaLNS_25InMemoryDataOperationEnumE0ENS_16TensorDescriptorINS_5TupleIJNS_5EmbedINS4_IJiiEEENS4_IJNS_17integral_constantIiLi1EEEiEEELb0EEENS_7UnMergeINS4_IJiNS7_IiLi4EEEEEELb0EEENS_11PassThroughIiEEEEENS4_IJNS_8SequenceIJLi0EEEENSI_IJLi2EEEENSI_IJLi1EEEEEEENS4_IJNSI_IJLi1ELi2EEEENSI_IJLi3ELi4EEEENSI_IJLi5EEEEEEENSI_IJLi3ELi5ELi4EEEElEENS3_INS4_IJNS5_IS6_NS4_IJiS8_EEELb0EEESE_SG_EEENS4_IJSJ_SL_SK_EEESQ_SR_lEENS3_INS4_IJSU_SG_SG_EEESW_NS4_IJSN_NSI_IJLi3EEEENSI_IJLi4EEEEEEESO_lEELi128ELi128ELi16ELi4ELi4ELi4ELi1ENSI_IJLi8ELi2EEEES13_NSI_IJLi2ELi1ELi4ELi4EEEENSI_IJLi8ELi1ELi32ELi1EEEENSI_IJLi0ELi3ELi1ELi2EEEES16_NSI_IJLi1ELi1ELi4ELi1EEEES16_NSI_IJLi1ELi1ELi4ELi4EEEES14_S15_S16_S16_S17_S16_S18_NSI_IJLi0ELi1ELi2ELi3ELi4ELi5EEEELi5ELi4EEEaaNS3_INS4_IJSA_SE_SG_SG_NSB_INS4_IJiNS7_IiLi128EEEEEELb0EEENSF_ISC_EEEEENS4_IJSJ_SK_SL_SZ_SP_S10_EEENS4_IJSN_SO_SP_NSI_IJLi6EEEENSI_IJLi7ELi8EEEENSI_IJLi9EEEEEEENSI_IJLi6ELi7ELi8ELi9EEEElEENS3_INS4_IJSU_SE_SG_SG_S1D_S1E_EEENS4_IJSJ_SL_SK_SZ_SP_S10_EEES1K_S1L_lEENS3_INS4_IJSU_SG_SG_NSB_INS4_IJiNS7_IiLi2EEENS7_IiLi64EEEEEELb0EEES1T_EEENS4_IJSJ_SL_SK_SZ_S10_EEENS4_IJSN_SZ_S10_NSI_IJLi5ELi6ELi7EEEENSI_IJLi8ELi9ELi10EEEEEEENSI_IJLi5ELi6ELi7ELi8ELi9ELi10EEEElEENS_31BlockToCTileMap_M00_N00_M01_N01ILi128ELi128ES12_Lb0EEELb0ELb1EEEvPKT0_S25_PT1_T2_T3_T4_T5_.has_recursion, 0
	.set _ZN2ck19kernel_gemm_dl_v1r3INS_28GridwiseGemmDl_km_kn_mn_v1r3ILi256EaiaLNS_25InMemoryDataOperationEnumE0ENS_16TensorDescriptorINS_5TupleIJNS_5EmbedINS4_IJiiEEENS4_IJNS_17integral_constantIiLi1EEEiEEELb0EEENS_7UnMergeINS4_IJiNS7_IiLi4EEEEEELb0EEENS_11PassThroughIiEEEEENS4_IJNS_8SequenceIJLi0EEEENSI_IJLi2EEEENSI_IJLi1EEEEEEENS4_IJNSI_IJLi1ELi2EEEENSI_IJLi3ELi4EEEENSI_IJLi5EEEEEEENSI_IJLi3ELi5ELi4EEEElEENS3_INS4_IJNS5_IS6_NS4_IJiS8_EEELb0EEESE_SG_EEENS4_IJSJ_SL_SK_EEESQ_SR_lEENS3_INS4_IJSU_SG_SG_EEESW_NS4_IJSN_NSI_IJLi3EEEENSI_IJLi4EEEEEEESO_lEELi128ELi128ELi16ELi4ELi4ELi4ELi1ENSI_IJLi8ELi2EEEES13_NSI_IJLi2ELi1ELi4ELi4EEEENSI_IJLi8ELi1ELi32ELi1EEEENSI_IJLi0ELi3ELi1ELi2EEEES16_NSI_IJLi1ELi1ELi4ELi1EEEES16_NSI_IJLi1ELi1ELi4ELi4EEEES14_S15_S16_S16_S17_S16_S18_NSI_IJLi0ELi1ELi2ELi3ELi4ELi5EEEELi5ELi4EEEaaNS3_INS4_IJSA_SE_SG_SG_NSB_INS4_IJiNS7_IiLi128EEEEEELb0EEENSF_ISC_EEEEENS4_IJSJ_SK_SL_SZ_SP_S10_EEENS4_IJSN_SO_SP_NSI_IJLi6EEEENSI_IJLi7ELi8EEEENSI_IJLi9EEEEEEENSI_IJLi6ELi7ELi8ELi9EEEElEENS3_INS4_IJSU_SE_SG_SG_S1D_S1E_EEENS4_IJSJ_SL_SK_SZ_SP_S10_EEES1K_S1L_lEENS3_INS4_IJSU_SG_SG_NSB_INS4_IJiNS7_IiLi2EEENS7_IiLi64EEEEEELb0EEES1T_EEENS4_IJSJ_SL_SK_SZ_S10_EEENS4_IJSN_SZ_S10_NSI_IJLi5ELi6ELi7EEEENSI_IJLi8ELi9ELi10EEEEEEENSI_IJLi5ELi6ELi7ELi8ELi9ELi10EEEElEENS_31BlockToCTileMap_M00_N00_M01_N01ILi128ELi128ES12_Lb0EEELb0ELb1EEEvPKT0_S25_PT1_T2_T3_T4_T5_.has_indirect_call, 0
	.section	.AMDGPU.csdata,"",@progbits
; Kernel info:
; codeLenInByte = 12720
; TotalNumSgprs: 35
; NumVgprs: 121
; ScratchSize: 0
; MemoryBound: 0
; FloatMode: 240
; IeeeMode: 1
; LDSByteSize: 32768 bytes/workgroup (compile time only)
; SGPRBlocks: 0
; VGPRBlocks: 15
; NumSGPRsForWavesPerEU: 35
; NumVGPRsForWavesPerEU: 121
; Occupancy: 8
; WaveLimiterHint : 0
; COMPUTE_PGM_RSRC2:SCRATCH_EN: 0
; COMPUTE_PGM_RSRC2:USER_SGPR: 6
; COMPUTE_PGM_RSRC2:TRAP_HANDLER: 0
; COMPUTE_PGM_RSRC2:TGID_X_EN: 1
; COMPUTE_PGM_RSRC2:TGID_Y_EN: 0
; COMPUTE_PGM_RSRC2:TGID_Z_EN: 0
; COMPUTE_PGM_RSRC2:TIDIG_COMP_CNT: 0
	.section	.text._ZN2ck19kernel_gemm_dl_v1r3INS_28GridwiseGemmDl_km_kn_mn_v1r3ILi256EaiaLNS_25InMemoryDataOperationEnumE0ENS_16TensorDescriptorINS_5TupleIJNS_5EmbedINS4_IJiiEEENS4_IJNS_17integral_constantIiLi1EEEiEEELb0EEENS_7UnMergeINS4_IJiNS7_IiLi4EEEEEELb0EEENS_11PassThroughIiEEEEENS4_IJNS_8SequenceIJLi0EEEENSI_IJLi2EEEENSI_IJLi1EEEEEEENS4_IJNSI_IJLi1ELi2EEEENSI_IJLi3ELi4EEEENSI_IJLi5EEEEEEENSI_IJLi3ELi5ELi4EEEElEENS3_INS4_IJNS5_IS6_NS4_IJiS8_EEELb0EEESE_SG_EEENS4_IJSJ_SL_SK_EEESQ_SR_lEENS3_INS4_IJSU_SG_SG_EEESW_NS4_IJSN_NSI_IJLi3EEEENSI_IJLi4EEEEEEESO_lEELi128ELi128ELi16ELi4ELi4ELi4ELi1ENSI_IJLi8ELi2EEEES13_NSI_IJLi2ELi1ELi4ELi4EEEENSI_IJLi8ELi1ELi32ELi1EEEENSI_IJLi0ELi3ELi1ELi2EEEES16_NSI_IJLi1ELi1ELi4ELi1EEEES16_NSI_IJLi1ELi1ELi4ELi4EEEES14_S15_S16_S16_S17_S16_S18_NSI_IJLi0ELi1ELi2ELi3ELi4ELi5EEEELi5ELi4EEEaaNS3_INS4_IJSA_SE_SG_SG_NSB_INS4_IJiNS7_IiLi128EEEEEELb0EEENSF_ISC_EEEEENS4_IJSJ_SK_SL_SZ_SP_S10_EEENS4_IJSN_SO_SP_NSI_IJLi6EEEENSI_IJLi7ELi8EEEENSI_IJLi9EEEEEEENSI_IJLi6ELi7ELi8ELi9EEEElEENS3_INS4_IJSU_SE_SG_SG_S1D_S1E_EEENS4_IJSJ_SL_SK_SZ_SP_S10_EEES1K_S1L_lEENS3_INS4_IJSU_SG_SG_NSB_INS4_IJiNS7_IiLi2EEENS7_IiLi64EEEEEELb0EEES1T_EEENS4_IJSJ_SL_SK_SZ_S10_EEENS4_IJSN_SZ_S10_NSI_IJLi5ELi6ELi7EEEENSI_IJLi8ELi9ELi10EEEEEEENSI_IJLi5ELi6ELi7ELi8ELi9ELi10EEEElEENS_31BlockToCTileMap_M00_N00_M01_N01ILi128ELi128ES12_Lb0EEELb0ELb0EEEvPKT0_S25_PT1_T2_T3_T4_T5_,"axG",@progbits,_ZN2ck19kernel_gemm_dl_v1r3INS_28GridwiseGemmDl_km_kn_mn_v1r3ILi256EaiaLNS_25InMemoryDataOperationEnumE0ENS_16TensorDescriptorINS_5TupleIJNS_5EmbedINS4_IJiiEEENS4_IJNS_17integral_constantIiLi1EEEiEEELb0EEENS_7UnMergeINS4_IJiNS7_IiLi4EEEEEELb0EEENS_11PassThroughIiEEEEENS4_IJNS_8SequenceIJLi0EEEENSI_IJLi2EEEENSI_IJLi1EEEEEEENS4_IJNSI_IJLi1ELi2EEEENSI_IJLi3ELi4EEEENSI_IJLi5EEEEEEENSI_IJLi3ELi5ELi4EEEElEENS3_INS4_IJNS5_IS6_NS4_IJiS8_EEELb0EEESE_SG_EEENS4_IJSJ_SL_SK_EEESQ_SR_lEENS3_INS4_IJSU_SG_SG_EEESW_NS4_IJSN_NSI_IJLi3EEEENSI_IJLi4EEEEEEESO_lEELi128ELi128ELi16ELi4ELi4ELi4ELi1ENSI_IJLi8ELi2EEEES13_NSI_IJLi2ELi1ELi4ELi4EEEENSI_IJLi8ELi1ELi32ELi1EEEENSI_IJLi0ELi3ELi1ELi2EEEES16_NSI_IJLi1ELi1ELi4ELi1EEEES16_NSI_IJLi1ELi1ELi4ELi4EEEES14_S15_S16_S16_S17_S16_S18_NSI_IJLi0ELi1ELi2ELi3ELi4ELi5EEEELi5ELi4EEEaaNS3_INS4_IJSA_SE_SG_SG_NSB_INS4_IJiNS7_IiLi128EEEEEELb0EEENSF_ISC_EEEEENS4_IJSJ_SK_SL_SZ_SP_S10_EEENS4_IJSN_SO_SP_NSI_IJLi6EEEENSI_IJLi7ELi8EEEENSI_IJLi9EEEEEEENSI_IJLi6ELi7ELi8ELi9EEEElEENS3_INS4_IJSU_SE_SG_SG_S1D_S1E_EEENS4_IJSJ_SL_SK_SZ_SP_S10_EEES1K_S1L_lEENS3_INS4_IJSU_SG_SG_NSB_INS4_IJiNS7_IiLi2EEENS7_IiLi64EEEEEELb0EEES1T_EEENS4_IJSJ_SL_SK_SZ_S10_EEENS4_IJSN_SZ_S10_NSI_IJLi5ELi6ELi7EEEENSI_IJLi8ELi9ELi10EEEEEEENSI_IJLi5ELi6ELi7ELi8ELi9ELi10EEEElEENS_31BlockToCTileMap_M00_N00_M01_N01ILi128ELi128ES12_Lb0EEELb0ELb0EEEvPKT0_S25_PT1_T2_T3_T4_T5_,comdat
	.protected	_ZN2ck19kernel_gemm_dl_v1r3INS_28GridwiseGemmDl_km_kn_mn_v1r3ILi256EaiaLNS_25InMemoryDataOperationEnumE0ENS_16TensorDescriptorINS_5TupleIJNS_5EmbedINS4_IJiiEEENS4_IJNS_17integral_constantIiLi1EEEiEEELb0EEENS_7UnMergeINS4_IJiNS7_IiLi4EEEEEELb0EEENS_11PassThroughIiEEEEENS4_IJNS_8SequenceIJLi0EEEENSI_IJLi2EEEENSI_IJLi1EEEEEEENS4_IJNSI_IJLi1ELi2EEEENSI_IJLi3ELi4EEEENSI_IJLi5EEEEEEENSI_IJLi3ELi5ELi4EEEElEENS3_INS4_IJNS5_IS6_NS4_IJiS8_EEELb0EEESE_SG_EEENS4_IJSJ_SL_SK_EEESQ_SR_lEENS3_INS4_IJSU_SG_SG_EEESW_NS4_IJSN_NSI_IJLi3EEEENSI_IJLi4EEEEEEESO_lEELi128ELi128ELi16ELi4ELi4ELi4ELi1ENSI_IJLi8ELi2EEEES13_NSI_IJLi2ELi1ELi4ELi4EEEENSI_IJLi8ELi1ELi32ELi1EEEENSI_IJLi0ELi3ELi1ELi2EEEES16_NSI_IJLi1ELi1ELi4ELi1EEEES16_NSI_IJLi1ELi1ELi4ELi4EEEES14_S15_S16_S16_S17_S16_S18_NSI_IJLi0ELi1ELi2ELi3ELi4ELi5EEEELi5ELi4EEEaaNS3_INS4_IJSA_SE_SG_SG_NSB_INS4_IJiNS7_IiLi128EEEEEELb0EEENSF_ISC_EEEEENS4_IJSJ_SK_SL_SZ_SP_S10_EEENS4_IJSN_SO_SP_NSI_IJLi6EEEENSI_IJLi7ELi8EEEENSI_IJLi9EEEEEEENSI_IJLi6ELi7ELi8ELi9EEEElEENS3_INS4_IJSU_SE_SG_SG_S1D_S1E_EEENS4_IJSJ_SL_SK_SZ_SP_S10_EEES1K_S1L_lEENS3_INS4_IJSU_SG_SG_NSB_INS4_IJiNS7_IiLi2EEENS7_IiLi64EEEEEELb0EEES1T_EEENS4_IJSJ_SL_SK_SZ_S10_EEENS4_IJSN_SZ_S10_NSI_IJLi5ELi6ELi7EEEENSI_IJLi8ELi9ELi10EEEEEEENSI_IJLi5ELi6ELi7ELi8ELi9ELi10EEEElEENS_31BlockToCTileMap_M00_N00_M01_N01ILi128ELi128ES12_Lb0EEELb0ELb0EEEvPKT0_S25_PT1_T2_T3_T4_T5_ ; -- Begin function _ZN2ck19kernel_gemm_dl_v1r3INS_28GridwiseGemmDl_km_kn_mn_v1r3ILi256EaiaLNS_25InMemoryDataOperationEnumE0ENS_16TensorDescriptorINS_5TupleIJNS_5EmbedINS4_IJiiEEENS4_IJNS_17integral_constantIiLi1EEEiEEELb0EEENS_7UnMergeINS4_IJiNS7_IiLi4EEEEEELb0EEENS_11PassThroughIiEEEEENS4_IJNS_8SequenceIJLi0EEEENSI_IJLi2EEEENSI_IJLi1EEEEEEENS4_IJNSI_IJLi1ELi2EEEENSI_IJLi3ELi4EEEENSI_IJLi5EEEEEEENSI_IJLi3ELi5ELi4EEEElEENS3_INS4_IJNS5_IS6_NS4_IJiS8_EEELb0EEESE_SG_EEENS4_IJSJ_SL_SK_EEESQ_SR_lEENS3_INS4_IJSU_SG_SG_EEESW_NS4_IJSN_NSI_IJLi3EEEENSI_IJLi4EEEEEEESO_lEELi128ELi128ELi16ELi4ELi4ELi4ELi1ENSI_IJLi8ELi2EEEES13_NSI_IJLi2ELi1ELi4ELi4EEEENSI_IJLi8ELi1ELi32ELi1EEEENSI_IJLi0ELi3ELi1ELi2EEEES16_NSI_IJLi1ELi1ELi4ELi1EEEES16_NSI_IJLi1ELi1ELi4ELi4EEEES14_S15_S16_S16_S17_S16_S18_NSI_IJLi0ELi1ELi2ELi3ELi4ELi5EEEELi5ELi4EEEaaNS3_INS4_IJSA_SE_SG_SG_NSB_INS4_IJiNS7_IiLi128EEEEEELb0EEENSF_ISC_EEEEENS4_IJSJ_SK_SL_SZ_SP_S10_EEENS4_IJSN_SO_SP_NSI_IJLi6EEEENSI_IJLi7ELi8EEEENSI_IJLi9EEEEEEENSI_IJLi6ELi7ELi8ELi9EEEElEENS3_INS4_IJSU_SE_SG_SG_S1D_S1E_EEENS4_IJSJ_SL_SK_SZ_SP_S10_EEES1K_S1L_lEENS3_INS4_IJSU_SG_SG_NSB_INS4_IJiNS7_IiLi2EEENS7_IiLi64EEEEEELb0EEES1T_EEENS4_IJSJ_SL_SK_SZ_S10_EEENS4_IJSN_SZ_S10_NSI_IJLi5ELi6ELi7EEEENSI_IJLi8ELi9ELi10EEEEEEENSI_IJLi5ELi6ELi7ELi8ELi9ELi10EEEElEENS_31BlockToCTileMap_M00_N00_M01_N01ILi128ELi128ES12_Lb0EEELb0ELb0EEEvPKT0_S25_PT1_T2_T3_T4_T5_
	.globl	_ZN2ck19kernel_gemm_dl_v1r3INS_28GridwiseGemmDl_km_kn_mn_v1r3ILi256EaiaLNS_25InMemoryDataOperationEnumE0ENS_16TensorDescriptorINS_5TupleIJNS_5EmbedINS4_IJiiEEENS4_IJNS_17integral_constantIiLi1EEEiEEELb0EEENS_7UnMergeINS4_IJiNS7_IiLi4EEEEEELb0EEENS_11PassThroughIiEEEEENS4_IJNS_8SequenceIJLi0EEEENSI_IJLi2EEEENSI_IJLi1EEEEEEENS4_IJNSI_IJLi1ELi2EEEENSI_IJLi3ELi4EEEENSI_IJLi5EEEEEEENSI_IJLi3ELi5ELi4EEEElEENS3_INS4_IJNS5_IS6_NS4_IJiS8_EEELb0EEESE_SG_EEENS4_IJSJ_SL_SK_EEESQ_SR_lEENS3_INS4_IJSU_SG_SG_EEESW_NS4_IJSN_NSI_IJLi3EEEENSI_IJLi4EEEEEEESO_lEELi128ELi128ELi16ELi4ELi4ELi4ELi1ENSI_IJLi8ELi2EEEES13_NSI_IJLi2ELi1ELi4ELi4EEEENSI_IJLi8ELi1ELi32ELi1EEEENSI_IJLi0ELi3ELi1ELi2EEEES16_NSI_IJLi1ELi1ELi4ELi1EEEES16_NSI_IJLi1ELi1ELi4ELi4EEEES14_S15_S16_S16_S17_S16_S18_NSI_IJLi0ELi1ELi2ELi3ELi4ELi5EEEELi5ELi4EEEaaNS3_INS4_IJSA_SE_SG_SG_NSB_INS4_IJiNS7_IiLi128EEEEEELb0EEENSF_ISC_EEEEENS4_IJSJ_SK_SL_SZ_SP_S10_EEENS4_IJSN_SO_SP_NSI_IJLi6EEEENSI_IJLi7ELi8EEEENSI_IJLi9EEEEEEENSI_IJLi6ELi7ELi8ELi9EEEElEENS3_INS4_IJSU_SE_SG_SG_S1D_S1E_EEENS4_IJSJ_SL_SK_SZ_SP_S10_EEES1K_S1L_lEENS3_INS4_IJSU_SG_SG_NSB_INS4_IJiNS7_IiLi2EEENS7_IiLi64EEEEEELb0EEES1T_EEENS4_IJSJ_SL_SK_SZ_S10_EEENS4_IJSN_SZ_S10_NSI_IJLi5ELi6ELi7EEEENSI_IJLi8ELi9ELi10EEEEEEENSI_IJLi5ELi6ELi7ELi8ELi9ELi10EEEElEENS_31BlockToCTileMap_M00_N00_M01_N01ILi128ELi128ES12_Lb0EEELb0ELb0EEEvPKT0_S25_PT1_T2_T3_T4_T5_
	.p2align	8
	.type	_ZN2ck19kernel_gemm_dl_v1r3INS_28GridwiseGemmDl_km_kn_mn_v1r3ILi256EaiaLNS_25InMemoryDataOperationEnumE0ENS_16TensorDescriptorINS_5TupleIJNS_5EmbedINS4_IJiiEEENS4_IJNS_17integral_constantIiLi1EEEiEEELb0EEENS_7UnMergeINS4_IJiNS7_IiLi4EEEEEELb0EEENS_11PassThroughIiEEEEENS4_IJNS_8SequenceIJLi0EEEENSI_IJLi2EEEENSI_IJLi1EEEEEEENS4_IJNSI_IJLi1ELi2EEEENSI_IJLi3ELi4EEEENSI_IJLi5EEEEEEENSI_IJLi3ELi5ELi4EEEElEENS3_INS4_IJNS5_IS6_NS4_IJiS8_EEELb0EEESE_SG_EEENS4_IJSJ_SL_SK_EEESQ_SR_lEENS3_INS4_IJSU_SG_SG_EEESW_NS4_IJSN_NSI_IJLi3EEEENSI_IJLi4EEEEEEESO_lEELi128ELi128ELi16ELi4ELi4ELi4ELi1ENSI_IJLi8ELi2EEEES13_NSI_IJLi2ELi1ELi4ELi4EEEENSI_IJLi8ELi1ELi32ELi1EEEENSI_IJLi0ELi3ELi1ELi2EEEES16_NSI_IJLi1ELi1ELi4ELi1EEEES16_NSI_IJLi1ELi1ELi4ELi4EEEES14_S15_S16_S16_S17_S16_S18_NSI_IJLi0ELi1ELi2ELi3ELi4ELi5EEEELi5ELi4EEEaaNS3_INS4_IJSA_SE_SG_SG_NSB_INS4_IJiNS7_IiLi128EEEEEELb0EEENSF_ISC_EEEEENS4_IJSJ_SK_SL_SZ_SP_S10_EEENS4_IJSN_SO_SP_NSI_IJLi6EEEENSI_IJLi7ELi8EEEENSI_IJLi9EEEEEEENSI_IJLi6ELi7ELi8ELi9EEEElEENS3_INS4_IJSU_SE_SG_SG_S1D_S1E_EEENS4_IJSJ_SL_SK_SZ_SP_S10_EEES1K_S1L_lEENS3_INS4_IJSU_SG_SG_NSB_INS4_IJiNS7_IiLi2EEENS7_IiLi64EEEEEELb0EEES1T_EEENS4_IJSJ_SL_SK_SZ_S10_EEENS4_IJSN_SZ_S10_NSI_IJLi5ELi6ELi7EEEENSI_IJLi8ELi9ELi10EEEEEEENSI_IJLi5ELi6ELi7ELi8ELi9ELi10EEEElEENS_31BlockToCTileMap_M00_N00_M01_N01ILi128ELi128ES12_Lb0EEELb0ELb0EEEvPKT0_S25_PT1_T2_T3_T4_T5_,@function
_ZN2ck19kernel_gemm_dl_v1r3INS_28GridwiseGemmDl_km_kn_mn_v1r3ILi256EaiaLNS_25InMemoryDataOperationEnumE0ENS_16TensorDescriptorINS_5TupleIJNS_5EmbedINS4_IJiiEEENS4_IJNS_17integral_constantIiLi1EEEiEEELb0EEENS_7UnMergeINS4_IJiNS7_IiLi4EEEEEELb0EEENS_11PassThroughIiEEEEENS4_IJNS_8SequenceIJLi0EEEENSI_IJLi2EEEENSI_IJLi1EEEEEEENS4_IJNSI_IJLi1ELi2EEEENSI_IJLi3ELi4EEEENSI_IJLi5EEEEEEENSI_IJLi3ELi5ELi4EEEElEENS3_INS4_IJNS5_IS6_NS4_IJiS8_EEELb0EEESE_SG_EEENS4_IJSJ_SL_SK_EEESQ_SR_lEENS3_INS4_IJSU_SG_SG_EEESW_NS4_IJSN_NSI_IJLi3EEEENSI_IJLi4EEEEEEESO_lEELi128ELi128ELi16ELi4ELi4ELi4ELi1ENSI_IJLi8ELi2EEEES13_NSI_IJLi2ELi1ELi4ELi4EEEENSI_IJLi8ELi1ELi32ELi1EEEENSI_IJLi0ELi3ELi1ELi2EEEES16_NSI_IJLi1ELi1ELi4ELi1EEEES16_NSI_IJLi1ELi1ELi4ELi4EEEES14_S15_S16_S16_S17_S16_S18_NSI_IJLi0ELi1ELi2ELi3ELi4ELi5EEEELi5ELi4EEEaaNS3_INS4_IJSA_SE_SG_SG_NSB_INS4_IJiNS7_IiLi128EEEEEELb0EEENSF_ISC_EEEEENS4_IJSJ_SK_SL_SZ_SP_S10_EEENS4_IJSN_SO_SP_NSI_IJLi6EEEENSI_IJLi7ELi8EEEENSI_IJLi9EEEEEEENSI_IJLi6ELi7ELi8ELi9EEEElEENS3_INS4_IJSU_SE_SG_SG_S1D_S1E_EEENS4_IJSJ_SL_SK_SZ_SP_S10_EEES1K_S1L_lEENS3_INS4_IJSU_SG_SG_NSB_INS4_IJiNS7_IiLi2EEENS7_IiLi64EEEEEELb0EEES1T_EEENS4_IJSJ_SL_SK_SZ_S10_EEENS4_IJSN_SZ_S10_NSI_IJLi5ELi6ELi7EEEENSI_IJLi8ELi9ELi10EEEEEEENSI_IJLi5ELi6ELi7ELi8ELi9ELi10EEEElEENS_31BlockToCTileMap_M00_N00_M01_N01ILi128ELi128ES12_Lb0EEELb0ELb0EEEvPKT0_S25_PT1_T2_T3_T4_T5_: ; @_ZN2ck19kernel_gemm_dl_v1r3INS_28GridwiseGemmDl_km_kn_mn_v1r3ILi256EaiaLNS_25InMemoryDataOperationEnumE0ENS_16TensorDescriptorINS_5TupleIJNS_5EmbedINS4_IJiiEEENS4_IJNS_17integral_constantIiLi1EEEiEEELb0EEENS_7UnMergeINS4_IJiNS7_IiLi4EEEEEELb0EEENS_11PassThroughIiEEEEENS4_IJNS_8SequenceIJLi0EEEENSI_IJLi2EEEENSI_IJLi1EEEEEEENS4_IJNSI_IJLi1ELi2EEEENSI_IJLi3ELi4EEEENSI_IJLi5EEEEEEENSI_IJLi3ELi5ELi4EEEElEENS3_INS4_IJNS5_IS6_NS4_IJiS8_EEELb0EEESE_SG_EEENS4_IJSJ_SL_SK_EEESQ_SR_lEENS3_INS4_IJSU_SG_SG_EEESW_NS4_IJSN_NSI_IJLi3EEEENSI_IJLi4EEEEEEESO_lEELi128ELi128ELi16ELi4ELi4ELi4ELi1ENSI_IJLi8ELi2EEEES13_NSI_IJLi2ELi1ELi4ELi4EEEENSI_IJLi8ELi1ELi32ELi1EEEENSI_IJLi0ELi3ELi1ELi2EEEES16_NSI_IJLi1ELi1ELi4ELi1EEEES16_NSI_IJLi1ELi1ELi4ELi4EEEES14_S15_S16_S16_S17_S16_S18_NSI_IJLi0ELi1ELi2ELi3ELi4ELi5EEEELi5ELi4EEEaaNS3_INS4_IJSA_SE_SG_SG_NSB_INS4_IJiNS7_IiLi128EEEEEELb0EEENSF_ISC_EEEEENS4_IJSJ_SK_SL_SZ_SP_S10_EEENS4_IJSN_SO_SP_NSI_IJLi6EEEENSI_IJLi7ELi8EEEENSI_IJLi9EEEEEEENSI_IJLi6ELi7ELi8ELi9EEEElEENS3_INS4_IJSU_SE_SG_SG_S1D_S1E_EEENS4_IJSJ_SL_SK_SZ_SP_S10_EEES1K_S1L_lEENS3_INS4_IJSU_SG_SG_NSB_INS4_IJiNS7_IiLi2EEENS7_IiLi64EEEEEELb0EEES1T_EEENS4_IJSJ_SL_SK_SZ_S10_EEENS4_IJSN_SZ_S10_NSI_IJLi5ELi6ELi7EEEENSI_IJLi8ELi9ELi10EEEEEEENSI_IJLi5ELi6ELi7ELi8ELi9ELi10EEEElEENS_31BlockToCTileMap_M00_N00_M01_N01ILi128ELi128ES12_Lb0EEELb0ELb0EEEvPKT0_S25_PT1_T2_T3_T4_T5_
; %bb.0:
	s_clause 0xa
	s_load_dwordx4 s[20:23], s[4:5], 0x11c
	s_load_dwordx4 s[16:19], s[4:5], 0x130
	s_load_dword s33, s[4:5], 0x24
	s_load_dword s34, s[4:5], 0x60
	s_load_dwordx4 s[28:31], s[4:5], 0x108
	s_load_dword s10, s[4:5], 0x50
	s_load_dword s14, s[4:5], 0x90
	;; [unrolled: 1-line block ×6, first 2 shown]
	v_lshrrev_b32_e32 v1, 4, v0
	v_lshlrev_b32_e32 v58, 2, v0
	s_load_dwordx4 s[24:27], s[4:5], 0x0
	s_mov_b32 s11, 0x31014000
	v_lshrrev_b32_e32 v19, 5, v0
	v_and_b32_e32 v57, 14, v1
	v_and_b32_e32 v22, 0x7c, v58
	s_mov_b32 s15, s11
	v_lshlrev_b32_e32 v25, 1, v0
	v_lshlrev_b32_e32 v64, 6, v19
	;; [unrolled: 1-line block ×5, first 2 shown]
	v_and_b32_e32 v65, 0x1f8, v25
	v_mov_b32_e32 v42, 0
	v_mov_b32_e32 v49, 0
	s_waitcnt lgkmcnt(0)
	s_mul_hi_u32 s0, s23, s6
	v_mul_lo_u32 v2, s33, v1
	s_add_i32 s0, s6, s0
	v_mul_lo_u32 v1, s34, v1
	s_lshr_b32 s0, s0, s19
	v_sub_nc_u32_e32 v64, v65, v64
	s_mul_hi_u32 s8, s0, s22
	s_mul_i32 s9, s0, s31
	s_add_i32 s8, s0, s8
	s_sub_i32 s6, s6, s9
	s_lshr_b32 s8, s8, s18
	v_lshl_or_b32 v80, v57, 9, v74
	s_mul_hi_u32 s12, s8, s21
	v_and_or_b32 v64, v58, 4, v64
	s_add_i32 s9, s8, s12
	s_mul_i32 s12, s8, s30
	s_lshr_b32 s9, s9, s17
	s_sub_i32 s12, s0, s12
	s_mul_i32 s13, s9, s29
	s_mul_hi_u32 s0, s9, s20
	s_sub_i32 s8, s8, s13
	s_add_i32 s0, s9, s0
	s_mul_i32 s8, s8, s3
	s_lshr_b32 s0, s0, s16
	s_add_i32 s6, s6, s8
	s_mul_i32 s0, s0, s28
	s_lshl_b32 s3, s6, 7
	s_sub_i32 s0, s9, s0
	v_add3_u32 v1, v1, v22, s3
	s_mul_i32 s6, s0, s1
	s_load_dwordx2 s[0:1], s[4:5], 0x10
	s_add_i32 s12, s12, s6
	s_and_b32 s9, s25, 0xffff
	v_add_nc_u32_e32 v3, s34, v1
	s_lshl_b32 s4, s12, 7
	s_and_b32 s13, s27, 0xffff
	v_add3_u32 v2, v2, v22, s4
	s_mov_b32 s12, s26
	v_add_nc_u32_e32 v4, s34, v3
	s_mov_b32 s8, s24
	s_lshl_b32 s5, s34, 2
	v_add_nc_u32_e32 v5, s33, v2
	s_clause 0x1
	buffer_load_dword v59, v1, s[12:15], 0 offen
	buffer_load_dword v60, v3, s[12:15], 0 offen
	v_add_nc_u32_e32 v6, s34, v4
	s_clause 0x1
	buffer_load_dword v61, v2, s[8:11], 0 offen
	buffer_load_dword v62, v5, s[8:11], 0 offen
	;; [unrolled: 4-line block ×3, first 2 shown]
	v_add_nc_u32_e32 v6, s5, v6
	v_add_nc_u32_e32 v3, s5, v3
	;; [unrolled: 1-line block ×4, first 2 shown]
	s_lshl_b32 s5, s33, 2
	s_clause 0x3
	buffer_load_dword v68, v6, s[12:15], 0 offen
	buffer_load_dword v69, v3, s[12:15], 0 offen
	buffer_load_dword v70, v1, s[12:15], 0 offen
	buffer_load_dword v71, v4, s[12:15], 0 offen
	v_add_nc_u32_e32 v1, s33, v7
	v_add_nc_u32_e32 v3, s5, v5
	v_add_nc_u32_e32 v2, s5, v2
	s_clause 0x1
	buffer_load_dword v72, v7, s[8:11], 0 offen
	buffer_load_dword v73, v1, s[8:11], 0 offen
	v_add_nc_u32_e32 v1, s5, v1
	v_add_nc_u32_e32 v4, s5, v7
	v_and_or_b32 v65, v25, 4, v66
	v_mov_b32_e32 v50, 0
	s_clause 0x3
	buffer_load_dword v75, v1, s[8:11], 0 offen
	buffer_load_dword v76, v3, s[8:11], 0 offen
	;; [unrolled: 1-line block ×4, first 2 shown]
	v_mov_b32_e32 v46, 0
	v_lshlrev_b32_e32 v66, 2, v65
	v_mov_b32_e32 v24, 0
	v_mov_b32_e32 v32, 0
	;; [unrolled: 1-line block ×53, first 2 shown]
	v_or_b32_e32 v65, s4, v65
	s_waitcnt lgkmcnt(0)
	s_and_b32 s1, s1, 0xffff
	s_lshl_b32 s4, s7, 6
	v_mul_lo_u32 v65, v65, s7
	s_waitcnt vmcnt(14)
	v_perm_b32 v57, v59, v60, 0xc0c0004
	v_perm_b32 v58, v59, v60, 0xc0c0105
	;; [unrolled: 1-line block ×4, first 2 shown]
	s_waitcnt vmcnt(12)
	v_perm_b32 v79, v61, v62, 0xc0c0004
	s_waitcnt vmcnt(10)
	v_perm_b32 v59, v63, v67, 0xc0c0004
	v_perm_b32 v84, v63, v67, 0xc0c0206
	;; [unrolled: 1-line block ×5, first 2 shown]
	v_lshl_or_b32 v57, v59, 16, v57
	v_lshl_or_b32 v59, v84, 16, v74
	s_waitcnt vmcnt(7)
	v_perm_b32 v67, v70, v69, 0xc0c0105
	s_waitcnt vmcnt(6)
	v_perm_b32 v74, v71, v68, 0xc0c0105
	v_perm_b32 v82, v61, v62, 0xc0c0206
	;; [unrolled: 1-line block ×3, first 2 shown]
	s_waitcnt vmcnt(4)
	v_perm_b32 v86, v72, v73, 0xc0c0004
	v_lshl_or_b32 v58, v83, 16, v58
	v_lshl_or_b32 v60, v63, 16, v60
	v_perm_b32 v62, v70, v69, 0xc0c0004
	v_perm_b32 v63, v71, v68, 0xc0c0004
	;; [unrolled: 1-line block ×9, first 2 shown]
	v_lshl_or_b32 v69, v74, 16, v67
	v_lshl_or_b32 v72, v86, 16, v79
	s_waitcnt vmcnt(1)
	v_perm_b32 v67, v77, v76, 0xc0c0105
	s_waitcnt vmcnt(0)
	v_perm_b32 v79, v78, v75, 0xc0c0105
	v_lshl_or_b32 v68, v63, 16, v62
	v_lshl_or_b32 v70, v84, 16, v83
	;; [unrolled: 1-line block ×4, first 2 shown]
	v_perm_b32 v62, v77, v76, 0xc0c0004
	v_perm_b32 v63, v78, v75, 0xc0c0004
	;; [unrolled: 1-line block ×6, first 2 shown]
	v_lshl_or_b32 v71, v71, 16, v85
	v_lshl_or_b32 v77, v79, 16, v67
	v_lshlrev_b32_e32 v67, 2, v64
	v_lshl_or_b32 v75, v89, 16, v61
	v_lshl_or_b32 v76, v63, 16, v62
	;; [unrolled: 1-line block ×4, first 2 shown]
	ds_write_b128 v80, v[57:60] offset:16384
	ds_write_b128 v80, v[68:71] offset:16896
	ds_write_b128 v80, v[72:75]
	ds_write_b128 v80, v[76:79] offset:512
	s_waitcnt lgkmcnt(0)
	s_barrier
	buffer_gl0_inv
	ds_read_b128 v[68:71], v66
	ds_read_b128 v[72:75], v67 offset:16384
	ds_read_b128 v[76:79], v67 offset:16640
	;; [unrolled: 1-line block ×13, first 2 shown]
	v_mov_b32_e32 v57, 0
	v_mov_b32_e32 v59, 0
	;; [unrolled: 1-line block ×7, first 2 shown]
	s_waitcnt lgkmcnt(10)
	v_dot4c_i32_i8 v7, v80, v76
	v_dot4c_i32_i8 v12, v80, v77
	;; [unrolled: 1-line block ×56, first 2 shown]
	ds_read_b128 v[68:71], v66 offset:1536
	ds_read_b128 v[72:75], v66 offset:1792
	v_dot4c_i32_i8 v57, v82, v76
	v_dot4c_i32_i8 v59, v82, v77
	v_dot4c_i32_i8 v60, v82, v78
	v_dot4c_i32_i8 v58, v82, v79
	v_dot4c_i32_i8 v61, v83, v76
	v_dot4c_i32_i8 v62, v83, v77
	v_dot4c_i32_i8 v63, v83, v78
	v_dot4c_i32_i8 v1, v83, v79
	s_waitcnt lgkmcnt(9)
	v_dot4c_i32_i8 v42, v92, v84
	v_dot4c_i32_i8 v49, v92, v85
	v_dot4c_i32_i8 v50, v92, v86
	v_dot4c_i32_i8 v46, v92, v87
	v_dot4c_i32_i8 v24, v93, v84
	v_dot4c_i32_i8 v32, v93, v85
	v_dot4c_i32_i8 v33, v93, v86
	v_dot4c_i32_i8 v27, v93, v87
	v_dot4c_i32_i8 v26, v94, v84
	v_dot4c_i32_i8 v30, v94, v85
	v_dot4c_i32_i8 v31, v94, v86
	v_dot4c_i32_i8 v28, v94, v87
	v_dot4c_i32_i8 v11, v95, v84
	v_dot4c_i32_i8 v16, v95, v85
	v_dot4c_i32_i8 v17, v95, v86
	v_dot4c_i32_i8 v14, v95, v87
	v_dot4c_i32_i8 v51, v92, v88
	v_dot4c_i32_i8 v55, v92, v89
	v_dot4c_i32_i8 v56, v92, v90
	v_dot4c_i32_i8 v54, v92, v91
	v_dot4c_i32_i8 v47, v93, v88
	v_dot4c_i32_i8 v52, v93, v89
	v_dot4c_i32_i8 v53, v93, v90
	v_dot4c_i32_i8 v48, v93, v91
	v_dot4c_i32_i8 v29, v94, v88
	v_dot4c_i32_i8 v43, v94, v89
	v_dot4c_i32_i8 v40, v94, v90
	v_dot4c_i32_i8 v35, v94, v91
	v_dot4c_i32_i8 v34, v95, v88
	v_dot4c_i32_i8 v38, v95, v89
	v_dot4c_i32_i8 v39, v95, v90
	v_dot4c_i32_i8 v36, v95, v91
	s_waitcnt lgkmcnt(8)
	v_dot4c_i32_i8 v2, v96, v84
	v_dot4c_i32_i8 v4, v96, v85
	v_dot4c_i32_i8 v5, v96, v86
	v_dot4c_i32_i8 v3, v96, v87
	v_dot4c_i32_i8 v6, v97, v84
	v_dot4c_i32_i8 v9, v97, v85
	v_dot4c_i32_i8 v10, v97, v86
	v_dot4c_i32_i8 v8, v97, v87
	v_dot4c_i32_i8 v15, v98, v84
	v_dot4c_i32_i8 v20, v98, v85
	v_dot4c_i32_i8 v21, v98, v86
	v_dot4c_i32_i8 v18, v98, v87
	v_dot4c_i32_i8 v37, v99, v84
	v_dot4c_i32_i8 v44, v99, v85
	v_dot4c_i32_i8 v45, v99, v86
	v_dot4c_i32_i8 v41, v99, v87
	v_dot4c_i32_i8 v7, v96, v88
	v_dot4c_i32_i8 v12, v96, v89
	v_dot4c_i32_i8 v13, v96, v90
	v_dot4c_i32_i8 v0, v96, v91
	v_dot4c_i32_i8 v19, v97, v88
	v_dot4c_i32_i8 v23, v97, v89
	v_dot4c_i32_i8 v25, v97, v90
	v_dot4c_i32_i8 v22, v97, v91
	;; [unrolled: 33-line block ×5, first 2 shown]
	v_dot4c_i32_i8 v29, v70, v120
	v_dot4c_i32_i8 v43, v70, v121
	;; [unrolled: 1-line block ×8, first 2 shown]
	ds_read_b128 v[68:71], v66 offset:2048
	s_waitcnt lgkmcnt(1)
	v_dot4c_i32_i8 v2, v72, v116
	v_dot4c_i32_i8 v4, v72, v117
	;; [unrolled: 1-line block ×15, first 2 shown]
	ds_read_b128 v[76:79], v67 offset:18432
	ds_read_b128 v[80:83], v67 offset:18688
	v_dot4c_i32_i8 v41, v75, v119
	v_dot4c_i32_i8 v7, v72, v120
	;; [unrolled: 1-line block ×17, first 2 shown]
	ds_read_b128 v[72:75], v66 offset:2304
	s_waitcnt lgkmcnt(2)
	v_dot4c_i32_i8 v42, v68, v76
	v_dot4c_i32_i8 v49, v68, v77
	;; [unrolled: 1-line block ×16, first 2 shown]
	s_waitcnt lgkmcnt(1)
	v_dot4c_i32_i8 v51, v68, v80
	v_dot4c_i32_i8 v55, v68, v81
	;; [unrolled: 1-line block ×16, first 2 shown]
	ds_read_b128 v[68:71], v66 offset:2560
	s_waitcnt lgkmcnt(1)
	v_dot4c_i32_i8 v2, v72, v76
	v_dot4c_i32_i8 v4, v72, v77
	;; [unrolled: 1-line block ×15, first 2 shown]
	ds_read_b128 v[84:87], v67 offset:18944
	v_dot4c_i32_i8 v41, v75, v79
	v_dot4c_i32_i8 v7, v72, v80
	;; [unrolled: 1-line block ×15, first 2 shown]
	ds_read_b128 v[76:79], v67 offset:19200
	v_dot4c_i32_i8 v63, v75, v82
	v_dot4c_i32_i8 v1, v75, v83
	ds_read_b128 v[72:75], v66 offset:2816
	s_waitcnt lgkmcnt(2)
	v_dot4c_i32_i8 v42, v68, v84
	v_dot4c_i32_i8 v49, v68, v85
	;; [unrolled: 1-line block ×16, first 2 shown]
	s_waitcnt lgkmcnt(1)
	v_dot4c_i32_i8 v51, v68, v76
	v_dot4c_i32_i8 v55, v68, v77
	;; [unrolled: 1-line block ×16, first 2 shown]
	ds_read_b128 v[68:71], v66 offset:3072
	s_waitcnt lgkmcnt(1)
	v_dot4c_i32_i8 v2, v72, v84
	v_dot4c_i32_i8 v4, v72, v85
	;; [unrolled: 1-line block ×15, first 2 shown]
	ds_read_b128 v[80:83], v67 offset:19456
	v_dot4c_i32_i8 v41, v75, v87
	v_dot4c_i32_i8 v7, v72, v76
	;; [unrolled: 1-line block ×15, first 2 shown]
	ds_read_b128 v[84:87], v67 offset:19712
	v_dot4c_i32_i8 v63, v75, v78
	v_dot4c_i32_i8 v1, v75, v79
	ds_read_b128 v[72:75], v66 offset:3328
	s_waitcnt lgkmcnt(2)
	v_dot4c_i32_i8 v42, v68, v80
	v_dot4c_i32_i8 v49, v68, v81
	v_dot4c_i32_i8 v50, v68, v82
	v_dot4c_i32_i8 v46, v68, v83
	v_dot4c_i32_i8 v24, v69, v80
	v_dot4c_i32_i8 v32, v69, v81
	v_dot4c_i32_i8 v33, v69, v82
	v_dot4c_i32_i8 v27, v69, v83
	v_dot4c_i32_i8 v26, v70, v80
	v_dot4c_i32_i8 v30, v70, v81
	v_dot4c_i32_i8 v31, v70, v82
	v_dot4c_i32_i8 v28, v70, v83
	v_dot4c_i32_i8 v11, v71, v80
	v_dot4c_i32_i8 v16, v71, v81
	v_dot4c_i32_i8 v17, v71, v82
	v_dot4c_i32_i8 v14, v71, v83
	s_waitcnt lgkmcnt(1)
	v_dot4c_i32_i8 v51, v68, v84
	v_dot4c_i32_i8 v55, v68, v85
	;; [unrolled: 1-line block ×16, first 2 shown]
	ds_read_b128 v[68:71], v66 offset:3584
	s_waitcnt lgkmcnt(1)
	v_dot4c_i32_i8 v2, v72, v80
	v_dot4c_i32_i8 v4, v72, v81
	;; [unrolled: 1-line block ×15, first 2 shown]
	ds_read_b128 v[76:79], v67 offset:19968
	v_dot4c_i32_i8 v41, v75, v83
	v_dot4c_i32_i8 v7, v72, v84
	;; [unrolled: 1-line block ×15, first 2 shown]
	ds_read_b128 v[80:83], v67 offset:20224
	v_dot4c_i32_i8 v63, v75, v86
	v_dot4c_i32_i8 v1, v75, v87
	ds_read_b128 v[72:75], v66 offset:3840
	s_waitcnt lgkmcnt(2)
	v_dot4c_i32_i8 v42, v68, v76
	v_dot4c_i32_i8 v49, v68, v77
	;; [unrolled: 1-line block ×16, first 2 shown]
	s_waitcnt lgkmcnt(1)
	v_dot4c_i32_i8 v51, v68, v80
	v_dot4c_i32_i8 v55, v68, v81
	;; [unrolled: 1-line block ×16, first 2 shown]
	ds_read_b128 v[68:71], v66 offset:4096
	s_waitcnt lgkmcnt(1)
	v_dot4c_i32_i8 v2, v72, v76
	v_dot4c_i32_i8 v4, v72, v77
	;; [unrolled: 1-line block ×15, first 2 shown]
	ds_read_b128 v[84:87], v67 offset:20480
	v_dot4c_i32_i8 v41, v75, v79
	v_dot4c_i32_i8 v7, v72, v80
	;; [unrolled: 1-line block ×15, first 2 shown]
	ds_read_b128 v[76:79], v67 offset:20736
	v_dot4c_i32_i8 v63, v75, v82
	v_dot4c_i32_i8 v1, v75, v83
	ds_read_b128 v[72:75], v66 offset:4352
	s_waitcnt lgkmcnt(2)
	v_dot4c_i32_i8 v42, v68, v84
	v_dot4c_i32_i8 v49, v68, v85
	;; [unrolled: 1-line block ×16, first 2 shown]
	s_waitcnt lgkmcnt(1)
	v_dot4c_i32_i8 v51, v68, v76
	v_dot4c_i32_i8 v55, v68, v77
	;; [unrolled: 1-line block ×16, first 2 shown]
	ds_read_b128 v[68:71], v66 offset:4608
	s_waitcnt lgkmcnt(1)
	v_dot4c_i32_i8 v2, v72, v84
	v_dot4c_i32_i8 v4, v72, v85
	;; [unrolled: 1-line block ×15, first 2 shown]
	ds_read_b128 v[80:83], v67 offset:20992
	v_dot4c_i32_i8 v41, v75, v87
	v_dot4c_i32_i8 v7, v72, v76
	;; [unrolled: 1-line block ×15, first 2 shown]
	ds_read_b128 v[84:87], v67 offset:21248
	v_dot4c_i32_i8 v63, v75, v78
	v_dot4c_i32_i8 v1, v75, v79
	ds_read_b128 v[72:75], v66 offset:4864
	s_waitcnt lgkmcnt(2)
	v_dot4c_i32_i8 v42, v68, v80
	v_dot4c_i32_i8 v49, v68, v81
	;; [unrolled: 1-line block ×16, first 2 shown]
	s_waitcnt lgkmcnt(1)
	v_dot4c_i32_i8 v51, v68, v84
	v_dot4c_i32_i8 v55, v68, v85
	;; [unrolled: 1-line block ×16, first 2 shown]
	ds_read_b128 v[68:71], v66 offset:5120
	s_waitcnt lgkmcnt(1)
	v_dot4c_i32_i8 v2, v72, v80
	v_dot4c_i32_i8 v4, v72, v81
	v_dot4c_i32_i8 v5, v72, v82
	v_dot4c_i32_i8 v3, v72, v83
	v_dot4c_i32_i8 v6, v73, v80
	v_dot4c_i32_i8 v9, v73, v81
	v_dot4c_i32_i8 v10, v73, v82
	v_dot4c_i32_i8 v8, v73, v83
	v_dot4c_i32_i8 v15, v74, v80
	v_dot4c_i32_i8 v20, v74, v81
	v_dot4c_i32_i8 v21, v74, v82
	v_dot4c_i32_i8 v18, v74, v83
	v_dot4c_i32_i8 v37, v75, v80
	v_dot4c_i32_i8 v44, v75, v81
	v_dot4c_i32_i8 v45, v75, v82
	ds_read_b128 v[76:79], v67 offset:21504
	v_dot4c_i32_i8 v41, v75, v83
	v_dot4c_i32_i8 v7, v72, v84
	;; [unrolled: 1-line block ×15, first 2 shown]
	ds_read_b128 v[80:83], v67 offset:21760
	v_dot4c_i32_i8 v63, v75, v86
	v_dot4c_i32_i8 v1, v75, v87
	ds_read_b128 v[72:75], v66 offset:5376
	s_waitcnt lgkmcnt(2)
	v_dot4c_i32_i8 v42, v68, v76
	v_dot4c_i32_i8 v49, v68, v77
	;; [unrolled: 1-line block ×16, first 2 shown]
	s_waitcnt lgkmcnt(1)
	v_dot4c_i32_i8 v51, v68, v80
	v_dot4c_i32_i8 v55, v68, v81
	;; [unrolled: 1-line block ×16, first 2 shown]
	ds_read_b128 v[68:71], v66 offset:5632
	s_waitcnt lgkmcnt(1)
	v_dot4c_i32_i8 v2, v72, v76
	v_dot4c_i32_i8 v4, v72, v77
	;; [unrolled: 1-line block ×15, first 2 shown]
	ds_read_b128 v[84:87], v67 offset:22016
	v_dot4c_i32_i8 v41, v75, v79
	v_dot4c_i32_i8 v7, v72, v80
	;; [unrolled: 1-line block ×15, first 2 shown]
	ds_read_b128 v[76:79], v67 offset:22272
	v_dot4c_i32_i8 v63, v75, v82
	v_dot4c_i32_i8 v1, v75, v83
	ds_read_b128 v[72:75], v66 offset:5888
	s_waitcnt lgkmcnt(2)
	v_dot4c_i32_i8 v42, v68, v84
	v_dot4c_i32_i8 v49, v68, v85
	;; [unrolled: 1-line block ×16, first 2 shown]
	s_waitcnt lgkmcnt(1)
	v_dot4c_i32_i8 v51, v68, v76
	v_dot4c_i32_i8 v55, v68, v77
	;; [unrolled: 1-line block ×16, first 2 shown]
	ds_read_b128 v[68:71], v66 offset:6144
	s_waitcnt lgkmcnt(1)
	v_dot4c_i32_i8 v2, v72, v84
	v_dot4c_i32_i8 v4, v72, v85
	;; [unrolled: 1-line block ×15, first 2 shown]
	ds_read_b128 v[80:83], v67 offset:22528
	v_dot4c_i32_i8 v41, v75, v87
	v_dot4c_i32_i8 v7, v72, v76
	;; [unrolled: 1-line block ×15, first 2 shown]
	ds_read_b128 v[84:87], v67 offset:22784
	v_dot4c_i32_i8 v63, v75, v78
	v_dot4c_i32_i8 v1, v75, v79
	ds_read_b128 v[72:75], v66 offset:6400
	s_waitcnt lgkmcnt(2)
	v_dot4c_i32_i8 v42, v68, v80
	v_dot4c_i32_i8 v49, v68, v81
	;; [unrolled: 1-line block ×16, first 2 shown]
	s_waitcnt lgkmcnt(1)
	v_dot4c_i32_i8 v51, v68, v84
	v_dot4c_i32_i8 v55, v68, v85
	;; [unrolled: 1-line block ×16, first 2 shown]
	ds_read_b128 v[68:71], v66 offset:6656
	s_waitcnt lgkmcnt(1)
	v_dot4c_i32_i8 v2, v72, v80
	v_dot4c_i32_i8 v4, v72, v81
	;; [unrolled: 1-line block ×15, first 2 shown]
	ds_read_b128 v[76:79], v67 offset:23040
	v_dot4c_i32_i8 v41, v75, v83
	v_dot4c_i32_i8 v7, v72, v84
	;; [unrolled: 1-line block ×15, first 2 shown]
	ds_read_b128 v[80:83], v67 offset:23296
	v_dot4c_i32_i8 v63, v75, v86
	v_dot4c_i32_i8 v1, v75, v87
	ds_read_b128 v[72:75], v66 offset:6912
	s_waitcnt lgkmcnt(2)
	v_dot4c_i32_i8 v42, v68, v76
	v_dot4c_i32_i8 v49, v68, v77
	;; [unrolled: 1-line block ×16, first 2 shown]
	s_waitcnt lgkmcnt(1)
	v_dot4c_i32_i8 v51, v68, v80
	v_dot4c_i32_i8 v55, v68, v81
	;; [unrolled: 1-line block ×16, first 2 shown]
	ds_read_b128 v[68:71], v66 offset:7168
	s_waitcnt lgkmcnt(1)
	v_dot4c_i32_i8 v2, v72, v76
	v_dot4c_i32_i8 v4, v72, v77
	;; [unrolled: 1-line block ×15, first 2 shown]
	ds_read_b128 v[84:87], v67 offset:23552
	v_dot4c_i32_i8 v41, v75, v79
	ds_read_b128 v[76:79], v67 offset:23808
	v_dot4c_i32_i8 v7, v72, v80
	v_dot4c_i32_i8 v12, v72, v81
	;; [unrolled: 1-line block ×16, first 2 shown]
	ds_read_b128 v[72:75], v66 offset:7424
	s_waitcnt lgkmcnt(2)
	v_dot4c_i32_i8 v42, v68, v84
	v_dot4c_i32_i8 v49, v68, v85
	;; [unrolled: 1-line block ×16, first 2 shown]
	s_waitcnt lgkmcnt(1)
	v_dot4c_i32_i8 v51, v68, v76
	v_dot4c_i32_i8 v55, v68, v77
	;; [unrolled: 1-line block ×16, first 2 shown]
	ds_read_b128 v[68:71], v66 offset:7680
	ds_read_b128 v[80:83], v67 offset:24064
	s_waitcnt lgkmcnt(2)
	v_dot4c_i32_i8 v2, v72, v84
	v_dot4c_i32_i8 v4, v72, v85
	;; [unrolled: 1-line block ×16, first 2 shown]
	ds_read_b128 v[84:87], v67 offset:24320
	v_dot4c_i32_i8 v7, v72, v76
	v_dot4c_i32_i8 v12, v72, v77
	;; [unrolled: 1-line block ×16, first 2 shown]
	ds_read_b128 v[72:75], v66 offset:7936
	s_waitcnt lgkmcnt(2)
	v_dot4c_i32_i8 v49, v68, v81
	v_dot4c_i32_i8 v50, v68, v82
	s_waitcnt lgkmcnt(1)
	v_dot4c_i32_i8 v55, v68, v85
	v_dot4c_i32_i8 v56, v68, v86
	;; [unrolled: 1-line block ×4, first 2 shown]
	v_lshlrev_b32_e32 v49, 8, v49
	v_lshlrev_b32_e32 v50, 16, v50
	v_dot4c_i32_i8 v51, v68, v84
	v_dot4c_i32_i8 v54, v68, v87
	v_lshlrev_b32_e32 v55, 8, v55
	v_lshlrev_b32_e32 v56, 16, v56
	v_dot4c_i32_i8 v52, v69, v85
	v_dot4c_i32_i8 v53, v69, v86
	v_and_b32_e32 v49, 0xff00, v49
	v_and_b32_e32 v50, 0xff0000, v50
	v_perm_b32 v42, v46, v42, 0x40c0c00
	v_dot4c_i32_i8 v32, v69, v81
	v_dot4c_i32_i8 v33, v69, v82
	;; [unrolled: 1-line block ×4, first 2 shown]
	v_and_b32_e32 v46, 0xff00, v55
	v_and_b32_e32 v55, 0xff0000, v56
	v_perm_b32 v51, v54, v51, 0x40c0c00
	v_dot4c_i32_i8 v47, v69, v84
	v_dot4c_i32_i8 v48, v69, v87
	v_add3_u32 v54, s3, v64, v65
	v_or3_b32 v42, v42, v49, v50
	v_lshlrev_b32_e32 v49, 8, v52
	v_lshlrev_b32_e32 v50, 16, v53
	v_dot4c_i32_i8 v24, v69, v80
	v_dot4c_i32_i8 v27, v69, v83
	;; [unrolled: 1-line block ×4, first 2 shown]
	v_or3_b32 v46, v51, v46, v55
	v_lshlrev_b32_e32 v32, 8, v32
	v_lshlrev_b32_e32 v33, 16, v33
	;; [unrolled: 1-line block ×4, first 2 shown]
	s_mov_b32 s3, s11
	buffer_store_dword v42, v54, s[0:3], 0 offen
	buffer_store_dword v46, v54, s[0:3], 0 offen offset:64
	v_add_nc_u32_e32 v42, s7, v54
	v_and_b32_e32 v46, 0xff00, v49
	v_and_b32_e32 v49, 0xff0000, v50
	v_perm_b32 v47, v48, v47, 0x40c0c00
	v_dot4c_i32_i8 v43, v70, v85
	v_and_b32_e32 v32, 0xff00, v32
	v_and_b32_e32 v33, 0xff0000, v33
	v_perm_b32 v24, v27, v24, 0x40c0c00
	v_and_b32_e32 v27, 0xff00, v30
	v_and_b32_e32 v30, 0xff0000, v31
	v_perm_b32 v26, v28, v26, 0x40c0c00
	v_dot4c_i32_i8 v40, v70, v86
	v_add_nc_u32_e32 v28, 64, v42
	v_or3_b32 v31, v47, v46, v49
	v_dot4c_i32_i8 v38, v71, v85
	v_dot4c_i32_i8 v39, v71, v86
	v_or3_b32 v24, v24, v32, v33
	v_add_nc_u32_e32 v32, s7, v42
	v_or3_b32 v26, v26, v27, v30
	v_lshlrev_b32_e32 v27, 8, v43
	v_dot4c_i32_i8 v29, v70, v84
	v_dot4c_i32_i8 v35, v70, v87
	buffer_store_dword v31, v28, s[0:3], 0 offen
	buffer_store_dword v24, v42, s[0:3], 0 offen
	v_lshlrev_b32_e32 v24, 16, v40
	v_dot4c_i32_i8 v16, v71, v81
	v_dot4c_i32_i8 v17, v71, v82
	;; [unrolled: 1-line block ×4, first 2 shown]
	buffer_store_dword v26, v32, s[0:3], 0 offen
	v_and_b32_e32 v26, 0xff00, v27
	v_lshlrev_b32_e32 v27, 8, v38
	v_lshlrev_b32_e32 v28, 16, v39
	v_and_b32_e32 v24, 0xff0000, v24
	v_perm_b32 v29, v35, v29, 0x40c0c00
	v_dot4c_i32_i8 v11, v71, v80
	v_dot4c_i32_i8 v14, v71, v83
	v_add_nc_u32_e32 v30, 64, v32
	v_and_b32_e32 v27, 0xff00, v27
	v_and_b32_e32 v28, 0xff0000, v28
	v_perm_b32 v31, v36, v34, 0x40c0c00
	v_lshlrev_b32_e32 v16, 8, v16
	v_lshlrev_b32_e32 v17, 16, v17
	s_waitcnt lgkmcnt(0)
	v_dot4c_i32_i8 v44, v75, v81
	v_dot4c_i32_i8 v45, v75, v82
	v_or3_b32 v24, v29, v26, v24
	v_add_nc_u32_e32 v26, s7, v30
	v_or3_b32 v27, v31, v27, v28
	v_and_b32_e32 v16, 0xff00, v16
	v_and_b32_e32 v17, 0xff0000, v17
	v_perm_b32 v11, v14, v11, 0x40c0c00
	v_dot4c_i32_i8 v37, v75, v80
	v_dot4c_i32_i8 v41, v75, v83
	buffer_store_dword v24, v32, s[0:3], 0 offen offset:64
	v_lshlrev_b32_e32 v14, 8, v44
	v_lshlrev_b32_e32 v24, 16, v45
	v_dot4c_i32_i8 v62, v75, v85
	v_dot4c_i32_i8 v63, v75, v86
	buffer_store_dword v27, v26, s[0:3], 0 offen
	v_add_nc_u32_e32 v26, s7, v32
	v_or3_b32 v11, v11, v16, v17
	v_dot4c_i32_i8 v59, v74, v85
	v_dot4c_i32_i8 v60, v74, v86
	v_and_b32_e32 v14, 0xff00, v14
	v_and_b32_e32 v16, 0xff0000, v24
	v_perm_b32 v17, v41, v37, 0x40c0c00
	v_dot4c_i32_i8 v61, v75, v84
	v_dot4c_i32_i8 v1, v75, v87
	buffer_store_dword v11, v26, s[0:3], 0 offen
	v_add_nc_u32_e32 v11, s4, v26
	v_lshlrev_b32_e32 v24, 8, v62
	v_lshlrev_b32_e32 v26, 16, v63
	v_dot4c_i32_i8 v20, v74, v81
	v_dot4c_i32_i8 v21, v74, v82
	;; [unrolled: 1-line block ×4, first 2 shown]
	v_or3_b32 v14, v17, v14, v16
	v_lshlrev_b32_e32 v16, 8, v59
	v_lshlrev_b32_e32 v17, 16, v60
	v_and_b32_e32 v24, 0xff00, v24
	v_and_b32_e32 v26, 0xff0000, v26
	v_perm_b32 v1, v1, v61, 0x40c0c00
	v_dot4c_i32_i8 v15, v74, v80
	v_dot4c_i32_i8 v18, v74, v83
	v_and_b32_e32 v16, 0xff00, v16
	v_and_b32_e32 v17, 0xff0000, v17
	v_perm_b32 v27, v58, v57, 0x40c0c00
	v_lshlrev_b32_e32 v20, 8, v20
	v_lshlrev_b32_e32 v21, 16, v21
	v_or3_b32 v1, v1, v24, v26
	v_add_nc_u32_e32 v24, s4, v30
	v_dot4c_i32_i8 v9, v73, v81
	v_dot4c_i32_i8 v10, v73, v82
	;; [unrolled: 1-line block ×4, first 2 shown]
	v_or3_b32 v16, v27, v16, v17
	v_and_b32_e32 v17, 0xff00, v20
	v_and_b32_e32 v20, 0xff0000, v21
	v_perm_b32 v15, v18, v15, 0x40c0c00
	v_dot4c_i32_i8 v12, v72, v85
	v_dot4c_i32_i8 v13, v72, v86
	buffer_store_dword v14, v11, s[0:3], 0 offen
	buffer_store_dword v1, v11, s[0:3], 0 offen offset:64
	v_subrev_nc_u32_e32 v1, 64, v24
	v_dot4c_i32_i8 v4, v72, v81
	v_dot4c_i32_i8 v5, v72, v82
	;; [unrolled: 1-line block ×4, first 2 shown]
	v_lshlrev_b32_e32 v9, 8, v9
	v_lshlrev_b32_e32 v10, 16, v10
	v_dot4c_i32_i8 v19, v73, v84
	v_dot4c_i32_i8 v22, v73, v87
	buffer_store_dword v16, v24, s[0:3], 0 offen
	v_or3_b32 v11, v15, v17, v20
	v_lshlrev_b32_e32 v15, 8, v23
	v_lshlrev_b32_e32 v16, 16, v25
	v_dot4c_i32_i8 v7, v72, v84
	v_dot4c_i32_i8 v0, v72, v87
	v_subrev_nc_u32_e32 v14, s7, v1
	v_lshlrev_b32_e32 v12, 8, v12
	v_lshlrev_b32_e32 v13, 16, v13
	v_dot4c_i32_i8 v2, v72, v80
	v_dot4c_i32_i8 v3, v72, v83
	v_lshlrev_b32_e32 v4, 8, v4
	v_lshlrev_b32_e32 v5, 16, v5
	v_and_b32_e32 v9, 0xff00, v9
	v_and_b32_e32 v10, 0xff0000, v10
	v_perm_b32 v6, v8, v6, 0x40c0c00
	v_and_b32_e32 v8, 0xff00, v15
	v_and_b32_e32 v15, 0xff0000, v16
	v_perm_b32 v16, v22, v19, 0x40c0c00
	v_subrev_nc_u32_e32 v17, s7, v14
	v_and_b32_e32 v12, 0xff00, v12
	v_and_b32_e32 v13, 0xff0000, v13
	v_perm_b32 v0, v0, v7, 0x40c0c00
	v_and_b32_e32 v4, 0xff00, v4
	v_and_b32_e32 v5, 0xff0000, v5
	v_perm_b32 v2, v3, v2, 0x40c0c00
	v_or3_b32 v3, v6, v9, v10
	v_or3_b32 v6, v16, v8, v15
	v_add_nc_u32_e32 v7, 64, v17
	v_or3_b32 v0, v0, v12, v13
	v_or3_b32 v2, v2, v4, v5
	buffer_store_dword v11, v1, s[0:3], 0 offen
	buffer_store_dword v3, v14, s[0:3], 0 offen
	buffer_store_dword v6, v14, s[0:3], 0 offen offset:64
	buffer_store_dword v0, v7, s[0:3], 0 offen
	buffer_store_dword v2, v17, s[0:3], 0 offen
	s_endpgm
	.section	.rodata,"a",@progbits
	.p2align	6, 0x0
	.amdhsa_kernel _ZN2ck19kernel_gemm_dl_v1r3INS_28GridwiseGemmDl_km_kn_mn_v1r3ILi256EaiaLNS_25InMemoryDataOperationEnumE0ENS_16TensorDescriptorINS_5TupleIJNS_5EmbedINS4_IJiiEEENS4_IJNS_17integral_constantIiLi1EEEiEEELb0EEENS_7UnMergeINS4_IJiNS7_IiLi4EEEEEELb0EEENS_11PassThroughIiEEEEENS4_IJNS_8SequenceIJLi0EEEENSI_IJLi2EEEENSI_IJLi1EEEEEEENS4_IJNSI_IJLi1ELi2EEEENSI_IJLi3ELi4EEEENSI_IJLi5EEEEEEENSI_IJLi3ELi5ELi4EEEElEENS3_INS4_IJNS5_IS6_NS4_IJiS8_EEELb0EEESE_SG_EEENS4_IJSJ_SL_SK_EEESQ_SR_lEENS3_INS4_IJSU_SG_SG_EEESW_NS4_IJSN_NSI_IJLi3EEEENSI_IJLi4EEEEEEESO_lEELi128ELi128ELi16ELi4ELi4ELi4ELi1ENSI_IJLi8ELi2EEEES13_NSI_IJLi2ELi1ELi4ELi4EEEENSI_IJLi8ELi1ELi32ELi1EEEENSI_IJLi0ELi3ELi1ELi2EEEES16_NSI_IJLi1ELi1ELi4ELi1EEEES16_NSI_IJLi1ELi1ELi4ELi4EEEES14_S15_S16_S16_S17_S16_S18_NSI_IJLi0ELi1ELi2ELi3ELi4ELi5EEEELi5ELi4EEEaaNS3_INS4_IJSA_SE_SG_SG_NSB_INS4_IJiNS7_IiLi128EEEEEELb0EEENSF_ISC_EEEEENS4_IJSJ_SK_SL_SZ_SP_S10_EEENS4_IJSN_SO_SP_NSI_IJLi6EEEENSI_IJLi7ELi8EEEENSI_IJLi9EEEEEEENSI_IJLi6ELi7ELi8ELi9EEEElEENS3_INS4_IJSU_SE_SG_SG_S1D_S1E_EEENS4_IJSJ_SL_SK_SZ_SP_S10_EEES1K_S1L_lEENS3_INS4_IJSU_SG_SG_NSB_INS4_IJiNS7_IiLi2EEENS7_IiLi64EEEEEELb0EEES1T_EEENS4_IJSJ_SL_SK_SZ_S10_EEENS4_IJSN_SZ_S10_NSI_IJLi5ELi6ELi7EEEENSI_IJLi8ELi9ELi10EEEEEEENSI_IJLi5ELi6ELi7ELi8ELi9ELi10EEEElEENS_31BlockToCTileMap_M00_N00_M01_N01ILi128ELi128ES12_Lb0EEELb0ELb0EEEvPKT0_S25_PT1_T2_T3_T4_T5_
		.amdhsa_group_segment_fixed_size 32768
		.amdhsa_private_segment_fixed_size 0
		.amdhsa_kernarg_size 328
		.amdhsa_user_sgpr_count 6
		.amdhsa_user_sgpr_private_segment_buffer 1
		.amdhsa_user_sgpr_dispatch_ptr 0
		.amdhsa_user_sgpr_queue_ptr 0
		.amdhsa_user_sgpr_kernarg_segment_ptr 1
		.amdhsa_user_sgpr_dispatch_id 0
		.amdhsa_user_sgpr_flat_scratch_init 0
		.amdhsa_user_sgpr_private_segment_size 0
		.amdhsa_wavefront_size32 1
		.amdhsa_uses_dynamic_stack 0
		.amdhsa_system_sgpr_private_segment_wavefront_offset 0
		.amdhsa_system_sgpr_workgroup_id_x 1
		.amdhsa_system_sgpr_workgroup_id_y 0
		.amdhsa_system_sgpr_workgroup_id_z 0
		.amdhsa_system_sgpr_workgroup_info 0
		.amdhsa_system_vgpr_workitem_id 0
		.amdhsa_next_free_vgpr 124
		.amdhsa_next_free_sgpr 35
		.amdhsa_reserve_vcc 0
		.amdhsa_reserve_flat_scratch 0
		.amdhsa_float_round_mode_32 0
		.amdhsa_float_round_mode_16_64 0
		.amdhsa_float_denorm_mode_32 3
		.amdhsa_float_denorm_mode_16_64 3
		.amdhsa_dx10_clamp 1
		.amdhsa_ieee_mode 1
		.amdhsa_fp16_overflow 0
		.amdhsa_workgroup_processor_mode 1
		.amdhsa_memory_ordered 1
		.amdhsa_forward_progress 1
		.amdhsa_shared_vgpr_count 0
		.amdhsa_exception_fp_ieee_invalid_op 0
		.amdhsa_exception_fp_denorm_src 0
		.amdhsa_exception_fp_ieee_div_zero 0
		.amdhsa_exception_fp_ieee_overflow 0
		.amdhsa_exception_fp_ieee_underflow 0
		.amdhsa_exception_fp_ieee_inexact 0
		.amdhsa_exception_int_div_zero 0
	.end_amdhsa_kernel
	.section	.text._ZN2ck19kernel_gemm_dl_v1r3INS_28GridwiseGemmDl_km_kn_mn_v1r3ILi256EaiaLNS_25InMemoryDataOperationEnumE0ENS_16TensorDescriptorINS_5TupleIJNS_5EmbedINS4_IJiiEEENS4_IJNS_17integral_constantIiLi1EEEiEEELb0EEENS_7UnMergeINS4_IJiNS7_IiLi4EEEEEELb0EEENS_11PassThroughIiEEEEENS4_IJNS_8SequenceIJLi0EEEENSI_IJLi2EEEENSI_IJLi1EEEEEEENS4_IJNSI_IJLi1ELi2EEEENSI_IJLi3ELi4EEEENSI_IJLi5EEEEEEENSI_IJLi3ELi5ELi4EEEElEENS3_INS4_IJNS5_IS6_NS4_IJiS8_EEELb0EEESE_SG_EEENS4_IJSJ_SL_SK_EEESQ_SR_lEENS3_INS4_IJSU_SG_SG_EEESW_NS4_IJSN_NSI_IJLi3EEEENSI_IJLi4EEEEEEESO_lEELi128ELi128ELi16ELi4ELi4ELi4ELi1ENSI_IJLi8ELi2EEEES13_NSI_IJLi2ELi1ELi4ELi4EEEENSI_IJLi8ELi1ELi32ELi1EEEENSI_IJLi0ELi3ELi1ELi2EEEES16_NSI_IJLi1ELi1ELi4ELi1EEEES16_NSI_IJLi1ELi1ELi4ELi4EEEES14_S15_S16_S16_S17_S16_S18_NSI_IJLi0ELi1ELi2ELi3ELi4ELi5EEEELi5ELi4EEEaaNS3_INS4_IJSA_SE_SG_SG_NSB_INS4_IJiNS7_IiLi128EEEEEELb0EEENSF_ISC_EEEEENS4_IJSJ_SK_SL_SZ_SP_S10_EEENS4_IJSN_SO_SP_NSI_IJLi6EEEENSI_IJLi7ELi8EEEENSI_IJLi9EEEEEEENSI_IJLi6ELi7ELi8ELi9EEEElEENS3_INS4_IJSU_SE_SG_SG_S1D_S1E_EEENS4_IJSJ_SL_SK_SZ_SP_S10_EEES1K_S1L_lEENS3_INS4_IJSU_SG_SG_NSB_INS4_IJiNS7_IiLi2EEENS7_IiLi64EEEEEELb0EEES1T_EEENS4_IJSJ_SL_SK_SZ_S10_EEENS4_IJSN_SZ_S10_NSI_IJLi5ELi6ELi7EEEENSI_IJLi8ELi9ELi10EEEEEEENSI_IJLi5ELi6ELi7ELi8ELi9ELi10EEEElEENS_31BlockToCTileMap_M00_N00_M01_N01ILi128ELi128ES12_Lb0EEELb0ELb0EEEvPKT0_S25_PT1_T2_T3_T4_T5_,"axG",@progbits,_ZN2ck19kernel_gemm_dl_v1r3INS_28GridwiseGemmDl_km_kn_mn_v1r3ILi256EaiaLNS_25InMemoryDataOperationEnumE0ENS_16TensorDescriptorINS_5TupleIJNS_5EmbedINS4_IJiiEEENS4_IJNS_17integral_constantIiLi1EEEiEEELb0EEENS_7UnMergeINS4_IJiNS7_IiLi4EEEEEELb0EEENS_11PassThroughIiEEEEENS4_IJNS_8SequenceIJLi0EEEENSI_IJLi2EEEENSI_IJLi1EEEEEEENS4_IJNSI_IJLi1ELi2EEEENSI_IJLi3ELi4EEEENSI_IJLi5EEEEEEENSI_IJLi3ELi5ELi4EEEElEENS3_INS4_IJNS5_IS6_NS4_IJiS8_EEELb0EEESE_SG_EEENS4_IJSJ_SL_SK_EEESQ_SR_lEENS3_INS4_IJSU_SG_SG_EEESW_NS4_IJSN_NSI_IJLi3EEEENSI_IJLi4EEEEEEESO_lEELi128ELi128ELi16ELi4ELi4ELi4ELi1ENSI_IJLi8ELi2EEEES13_NSI_IJLi2ELi1ELi4ELi4EEEENSI_IJLi8ELi1ELi32ELi1EEEENSI_IJLi0ELi3ELi1ELi2EEEES16_NSI_IJLi1ELi1ELi4ELi1EEEES16_NSI_IJLi1ELi1ELi4ELi4EEEES14_S15_S16_S16_S17_S16_S18_NSI_IJLi0ELi1ELi2ELi3ELi4ELi5EEEELi5ELi4EEEaaNS3_INS4_IJSA_SE_SG_SG_NSB_INS4_IJiNS7_IiLi128EEEEEELb0EEENSF_ISC_EEEEENS4_IJSJ_SK_SL_SZ_SP_S10_EEENS4_IJSN_SO_SP_NSI_IJLi6EEEENSI_IJLi7ELi8EEEENSI_IJLi9EEEEEEENSI_IJLi6ELi7ELi8ELi9EEEElEENS3_INS4_IJSU_SE_SG_SG_S1D_S1E_EEENS4_IJSJ_SL_SK_SZ_SP_S10_EEES1K_S1L_lEENS3_INS4_IJSU_SG_SG_NSB_INS4_IJiNS7_IiLi2EEENS7_IiLi64EEEEEELb0EEES1T_EEENS4_IJSJ_SL_SK_SZ_S10_EEENS4_IJSN_SZ_S10_NSI_IJLi5ELi6ELi7EEEENSI_IJLi8ELi9ELi10EEEEEEENSI_IJLi5ELi6ELi7ELi8ELi9ELi10EEEElEENS_31BlockToCTileMap_M00_N00_M01_N01ILi128ELi128ES12_Lb0EEELb0ELb0EEEvPKT0_S25_PT1_T2_T3_T4_T5_,comdat
.Lfunc_end4:
	.size	_ZN2ck19kernel_gemm_dl_v1r3INS_28GridwiseGemmDl_km_kn_mn_v1r3ILi256EaiaLNS_25InMemoryDataOperationEnumE0ENS_16TensorDescriptorINS_5TupleIJNS_5EmbedINS4_IJiiEEENS4_IJNS_17integral_constantIiLi1EEEiEEELb0EEENS_7UnMergeINS4_IJiNS7_IiLi4EEEEEELb0EEENS_11PassThroughIiEEEEENS4_IJNS_8SequenceIJLi0EEEENSI_IJLi2EEEENSI_IJLi1EEEEEEENS4_IJNSI_IJLi1ELi2EEEENSI_IJLi3ELi4EEEENSI_IJLi5EEEEEEENSI_IJLi3ELi5ELi4EEEElEENS3_INS4_IJNS5_IS6_NS4_IJiS8_EEELb0EEESE_SG_EEENS4_IJSJ_SL_SK_EEESQ_SR_lEENS3_INS4_IJSU_SG_SG_EEESW_NS4_IJSN_NSI_IJLi3EEEENSI_IJLi4EEEEEEESO_lEELi128ELi128ELi16ELi4ELi4ELi4ELi1ENSI_IJLi8ELi2EEEES13_NSI_IJLi2ELi1ELi4ELi4EEEENSI_IJLi8ELi1ELi32ELi1EEEENSI_IJLi0ELi3ELi1ELi2EEEES16_NSI_IJLi1ELi1ELi4ELi1EEEES16_NSI_IJLi1ELi1ELi4ELi4EEEES14_S15_S16_S16_S17_S16_S18_NSI_IJLi0ELi1ELi2ELi3ELi4ELi5EEEELi5ELi4EEEaaNS3_INS4_IJSA_SE_SG_SG_NSB_INS4_IJiNS7_IiLi128EEEEEELb0EEENSF_ISC_EEEEENS4_IJSJ_SK_SL_SZ_SP_S10_EEENS4_IJSN_SO_SP_NSI_IJLi6EEEENSI_IJLi7ELi8EEEENSI_IJLi9EEEEEEENSI_IJLi6ELi7ELi8ELi9EEEElEENS3_INS4_IJSU_SE_SG_SG_S1D_S1E_EEENS4_IJSJ_SL_SK_SZ_SP_S10_EEES1K_S1L_lEENS3_INS4_IJSU_SG_SG_NSB_INS4_IJiNS7_IiLi2EEENS7_IiLi64EEEEEELb0EEES1T_EEENS4_IJSJ_SL_SK_SZ_S10_EEENS4_IJSN_SZ_S10_NSI_IJLi5ELi6ELi7EEEENSI_IJLi8ELi9ELi10EEEEEEENSI_IJLi5ELi6ELi7ELi8ELi9ELi10EEEElEENS_31BlockToCTileMap_M00_N00_M01_N01ILi128ELi128ES12_Lb0EEELb0ELb0EEEvPKT0_S25_PT1_T2_T3_T4_T5_, .Lfunc_end4-_ZN2ck19kernel_gemm_dl_v1r3INS_28GridwiseGemmDl_km_kn_mn_v1r3ILi256EaiaLNS_25InMemoryDataOperationEnumE0ENS_16TensorDescriptorINS_5TupleIJNS_5EmbedINS4_IJiiEEENS4_IJNS_17integral_constantIiLi1EEEiEEELb0EEENS_7UnMergeINS4_IJiNS7_IiLi4EEEEEELb0EEENS_11PassThroughIiEEEEENS4_IJNS_8SequenceIJLi0EEEENSI_IJLi2EEEENSI_IJLi1EEEEEEENS4_IJNSI_IJLi1ELi2EEEENSI_IJLi3ELi4EEEENSI_IJLi5EEEEEEENSI_IJLi3ELi5ELi4EEEElEENS3_INS4_IJNS5_IS6_NS4_IJiS8_EEELb0EEESE_SG_EEENS4_IJSJ_SL_SK_EEESQ_SR_lEENS3_INS4_IJSU_SG_SG_EEESW_NS4_IJSN_NSI_IJLi3EEEENSI_IJLi4EEEEEEESO_lEELi128ELi128ELi16ELi4ELi4ELi4ELi1ENSI_IJLi8ELi2EEEES13_NSI_IJLi2ELi1ELi4ELi4EEEENSI_IJLi8ELi1ELi32ELi1EEEENSI_IJLi0ELi3ELi1ELi2EEEES16_NSI_IJLi1ELi1ELi4ELi1EEEES16_NSI_IJLi1ELi1ELi4ELi4EEEES14_S15_S16_S16_S17_S16_S18_NSI_IJLi0ELi1ELi2ELi3ELi4ELi5EEEELi5ELi4EEEaaNS3_INS4_IJSA_SE_SG_SG_NSB_INS4_IJiNS7_IiLi128EEEEEELb0EEENSF_ISC_EEEEENS4_IJSJ_SK_SL_SZ_SP_S10_EEENS4_IJSN_SO_SP_NSI_IJLi6EEEENSI_IJLi7ELi8EEEENSI_IJLi9EEEEEEENSI_IJLi6ELi7ELi8ELi9EEEElEENS3_INS4_IJSU_SE_SG_SG_S1D_S1E_EEENS4_IJSJ_SL_SK_SZ_SP_S10_EEES1K_S1L_lEENS3_INS4_IJSU_SG_SG_NSB_INS4_IJiNS7_IiLi2EEENS7_IiLi64EEEEEELb0EEES1T_EEENS4_IJSJ_SL_SK_SZ_S10_EEENS4_IJSN_SZ_S10_NSI_IJLi5ELi6ELi7EEEENSI_IJLi8ELi9ELi10EEEEEEENSI_IJLi5ELi6ELi7ELi8ELi9ELi10EEEElEENS_31BlockToCTileMap_M00_N00_M01_N01ILi128ELi128ES12_Lb0EEELb0ELb0EEEvPKT0_S25_PT1_T2_T3_T4_T5_
                                        ; -- End function
	.set _ZN2ck19kernel_gemm_dl_v1r3INS_28GridwiseGemmDl_km_kn_mn_v1r3ILi256EaiaLNS_25InMemoryDataOperationEnumE0ENS_16TensorDescriptorINS_5TupleIJNS_5EmbedINS4_IJiiEEENS4_IJNS_17integral_constantIiLi1EEEiEEELb0EEENS_7UnMergeINS4_IJiNS7_IiLi4EEEEEELb0EEENS_11PassThroughIiEEEEENS4_IJNS_8SequenceIJLi0EEEENSI_IJLi2EEEENSI_IJLi1EEEEEEENS4_IJNSI_IJLi1ELi2EEEENSI_IJLi3ELi4EEEENSI_IJLi5EEEEEEENSI_IJLi3ELi5ELi4EEEElEENS3_INS4_IJNS5_IS6_NS4_IJiS8_EEELb0EEESE_SG_EEENS4_IJSJ_SL_SK_EEESQ_SR_lEENS3_INS4_IJSU_SG_SG_EEESW_NS4_IJSN_NSI_IJLi3EEEENSI_IJLi4EEEEEEESO_lEELi128ELi128ELi16ELi4ELi4ELi4ELi1ENSI_IJLi8ELi2EEEES13_NSI_IJLi2ELi1ELi4ELi4EEEENSI_IJLi8ELi1ELi32ELi1EEEENSI_IJLi0ELi3ELi1ELi2EEEES16_NSI_IJLi1ELi1ELi4ELi1EEEES16_NSI_IJLi1ELi1ELi4ELi4EEEES14_S15_S16_S16_S17_S16_S18_NSI_IJLi0ELi1ELi2ELi3ELi4ELi5EEEELi5ELi4EEEaaNS3_INS4_IJSA_SE_SG_SG_NSB_INS4_IJiNS7_IiLi128EEEEEELb0EEENSF_ISC_EEEEENS4_IJSJ_SK_SL_SZ_SP_S10_EEENS4_IJSN_SO_SP_NSI_IJLi6EEEENSI_IJLi7ELi8EEEENSI_IJLi9EEEEEEENSI_IJLi6ELi7ELi8ELi9EEEElEENS3_INS4_IJSU_SE_SG_SG_S1D_S1E_EEENS4_IJSJ_SL_SK_SZ_SP_S10_EEES1K_S1L_lEENS3_INS4_IJSU_SG_SG_NSB_INS4_IJiNS7_IiLi2EEENS7_IiLi64EEEEEELb0EEES1T_EEENS4_IJSJ_SL_SK_SZ_S10_EEENS4_IJSN_SZ_S10_NSI_IJLi5ELi6ELi7EEEENSI_IJLi8ELi9ELi10EEEEEEENSI_IJLi5ELi6ELi7ELi8ELi9ELi10EEEElEENS_31BlockToCTileMap_M00_N00_M01_N01ILi128ELi128ES12_Lb0EEELb0ELb0EEEvPKT0_S25_PT1_T2_T3_T4_T5_.num_vgpr, 124
	.set _ZN2ck19kernel_gemm_dl_v1r3INS_28GridwiseGemmDl_km_kn_mn_v1r3ILi256EaiaLNS_25InMemoryDataOperationEnumE0ENS_16TensorDescriptorINS_5TupleIJNS_5EmbedINS4_IJiiEEENS4_IJNS_17integral_constantIiLi1EEEiEEELb0EEENS_7UnMergeINS4_IJiNS7_IiLi4EEEEEELb0EEENS_11PassThroughIiEEEEENS4_IJNS_8SequenceIJLi0EEEENSI_IJLi2EEEENSI_IJLi1EEEEEEENS4_IJNSI_IJLi1ELi2EEEENSI_IJLi3ELi4EEEENSI_IJLi5EEEEEEENSI_IJLi3ELi5ELi4EEEElEENS3_INS4_IJNS5_IS6_NS4_IJiS8_EEELb0EEESE_SG_EEENS4_IJSJ_SL_SK_EEESQ_SR_lEENS3_INS4_IJSU_SG_SG_EEESW_NS4_IJSN_NSI_IJLi3EEEENSI_IJLi4EEEEEEESO_lEELi128ELi128ELi16ELi4ELi4ELi4ELi1ENSI_IJLi8ELi2EEEES13_NSI_IJLi2ELi1ELi4ELi4EEEENSI_IJLi8ELi1ELi32ELi1EEEENSI_IJLi0ELi3ELi1ELi2EEEES16_NSI_IJLi1ELi1ELi4ELi1EEEES16_NSI_IJLi1ELi1ELi4ELi4EEEES14_S15_S16_S16_S17_S16_S18_NSI_IJLi0ELi1ELi2ELi3ELi4ELi5EEEELi5ELi4EEEaaNS3_INS4_IJSA_SE_SG_SG_NSB_INS4_IJiNS7_IiLi128EEEEEELb0EEENSF_ISC_EEEEENS4_IJSJ_SK_SL_SZ_SP_S10_EEENS4_IJSN_SO_SP_NSI_IJLi6EEEENSI_IJLi7ELi8EEEENSI_IJLi9EEEEEEENSI_IJLi6ELi7ELi8ELi9EEEElEENS3_INS4_IJSU_SE_SG_SG_S1D_S1E_EEENS4_IJSJ_SL_SK_SZ_SP_S10_EEES1K_S1L_lEENS3_INS4_IJSU_SG_SG_NSB_INS4_IJiNS7_IiLi2EEENS7_IiLi64EEEEEELb0EEES1T_EEENS4_IJSJ_SL_SK_SZ_S10_EEENS4_IJSN_SZ_S10_NSI_IJLi5ELi6ELi7EEEENSI_IJLi8ELi9ELi10EEEEEEENSI_IJLi5ELi6ELi7ELi8ELi9ELi10EEEElEENS_31BlockToCTileMap_M00_N00_M01_N01ILi128ELi128ES12_Lb0EEELb0ELb0EEEvPKT0_S25_PT1_T2_T3_T4_T5_.num_agpr, 0
	.set _ZN2ck19kernel_gemm_dl_v1r3INS_28GridwiseGemmDl_km_kn_mn_v1r3ILi256EaiaLNS_25InMemoryDataOperationEnumE0ENS_16TensorDescriptorINS_5TupleIJNS_5EmbedINS4_IJiiEEENS4_IJNS_17integral_constantIiLi1EEEiEEELb0EEENS_7UnMergeINS4_IJiNS7_IiLi4EEEEEELb0EEENS_11PassThroughIiEEEEENS4_IJNS_8SequenceIJLi0EEEENSI_IJLi2EEEENSI_IJLi1EEEEEEENS4_IJNSI_IJLi1ELi2EEEENSI_IJLi3ELi4EEEENSI_IJLi5EEEEEEENSI_IJLi3ELi5ELi4EEEElEENS3_INS4_IJNS5_IS6_NS4_IJiS8_EEELb0EEESE_SG_EEENS4_IJSJ_SL_SK_EEESQ_SR_lEENS3_INS4_IJSU_SG_SG_EEESW_NS4_IJSN_NSI_IJLi3EEEENSI_IJLi4EEEEEEESO_lEELi128ELi128ELi16ELi4ELi4ELi4ELi1ENSI_IJLi8ELi2EEEES13_NSI_IJLi2ELi1ELi4ELi4EEEENSI_IJLi8ELi1ELi32ELi1EEEENSI_IJLi0ELi3ELi1ELi2EEEES16_NSI_IJLi1ELi1ELi4ELi1EEEES16_NSI_IJLi1ELi1ELi4ELi4EEEES14_S15_S16_S16_S17_S16_S18_NSI_IJLi0ELi1ELi2ELi3ELi4ELi5EEEELi5ELi4EEEaaNS3_INS4_IJSA_SE_SG_SG_NSB_INS4_IJiNS7_IiLi128EEEEEELb0EEENSF_ISC_EEEEENS4_IJSJ_SK_SL_SZ_SP_S10_EEENS4_IJSN_SO_SP_NSI_IJLi6EEEENSI_IJLi7ELi8EEEENSI_IJLi9EEEEEEENSI_IJLi6ELi7ELi8ELi9EEEElEENS3_INS4_IJSU_SE_SG_SG_S1D_S1E_EEENS4_IJSJ_SL_SK_SZ_SP_S10_EEES1K_S1L_lEENS3_INS4_IJSU_SG_SG_NSB_INS4_IJiNS7_IiLi2EEENS7_IiLi64EEEEEELb0EEES1T_EEENS4_IJSJ_SL_SK_SZ_S10_EEENS4_IJSN_SZ_S10_NSI_IJLi5ELi6ELi7EEEENSI_IJLi8ELi9ELi10EEEEEEENSI_IJLi5ELi6ELi7ELi8ELi9ELi10EEEElEENS_31BlockToCTileMap_M00_N00_M01_N01ILi128ELi128ES12_Lb0EEELb0ELb0EEEvPKT0_S25_PT1_T2_T3_T4_T5_.numbered_sgpr, 35
	.set _ZN2ck19kernel_gemm_dl_v1r3INS_28GridwiseGemmDl_km_kn_mn_v1r3ILi256EaiaLNS_25InMemoryDataOperationEnumE0ENS_16TensorDescriptorINS_5TupleIJNS_5EmbedINS4_IJiiEEENS4_IJNS_17integral_constantIiLi1EEEiEEELb0EEENS_7UnMergeINS4_IJiNS7_IiLi4EEEEEELb0EEENS_11PassThroughIiEEEEENS4_IJNS_8SequenceIJLi0EEEENSI_IJLi2EEEENSI_IJLi1EEEEEEENS4_IJNSI_IJLi1ELi2EEEENSI_IJLi3ELi4EEEENSI_IJLi5EEEEEEENSI_IJLi3ELi5ELi4EEEElEENS3_INS4_IJNS5_IS6_NS4_IJiS8_EEELb0EEESE_SG_EEENS4_IJSJ_SL_SK_EEESQ_SR_lEENS3_INS4_IJSU_SG_SG_EEESW_NS4_IJSN_NSI_IJLi3EEEENSI_IJLi4EEEEEEESO_lEELi128ELi128ELi16ELi4ELi4ELi4ELi1ENSI_IJLi8ELi2EEEES13_NSI_IJLi2ELi1ELi4ELi4EEEENSI_IJLi8ELi1ELi32ELi1EEEENSI_IJLi0ELi3ELi1ELi2EEEES16_NSI_IJLi1ELi1ELi4ELi1EEEES16_NSI_IJLi1ELi1ELi4ELi4EEEES14_S15_S16_S16_S17_S16_S18_NSI_IJLi0ELi1ELi2ELi3ELi4ELi5EEEELi5ELi4EEEaaNS3_INS4_IJSA_SE_SG_SG_NSB_INS4_IJiNS7_IiLi128EEEEEELb0EEENSF_ISC_EEEEENS4_IJSJ_SK_SL_SZ_SP_S10_EEENS4_IJSN_SO_SP_NSI_IJLi6EEEENSI_IJLi7ELi8EEEENSI_IJLi9EEEEEEENSI_IJLi6ELi7ELi8ELi9EEEElEENS3_INS4_IJSU_SE_SG_SG_S1D_S1E_EEENS4_IJSJ_SL_SK_SZ_SP_S10_EEES1K_S1L_lEENS3_INS4_IJSU_SG_SG_NSB_INS4_IJiNS7_IiLi2EEENS7_IiLi64EEEEEELb0EEES1T_EEENS4_IJSJ_SL_SK_SZ_S10_EEENS4_IJSN_SZ_S10_NSI_IJLi5ELi6ELi7EEEENSI_IJLi8ELi9ELi10EEEEEEENSI_IJLi5ELi6ELi7ELi8ELi9ELi10EEEElEENS_31BlockToCTileMap_M00_N00_M01_N01ILi128ELi128ES12_Lb0EEELb0ELb0EEEvPKT0_S25_PT1_T2_T3_T4_T5_.num_named_barrier, 0
	.set _ZN2ck19kernel_gemm_dl_v1r3INS_28GridwiseGemmDl_km_kn_mn_v1r3ILi256EaiaLNS_25InMemoryDataOperationEnumE0ENS_16TensorDescriptorINS_5TupleIJNS_5EmbedINS4_IJiiEEENS4_IJNS_17integral_constantIiLi1EEEiEEELb0EEENS_7UnMergeINS4_IJiNS7_IiLi4EEEEEELb0EEENS_11PassThroughIiEEEEENS4_IJNS_8SequenceIJLi0EEEENSI_IJLi2EEEENSI_IJLi1EEEEEEENS4_IJNSI_IJLi1ELi2EEEENSI_IJLi3ELi4EEEENSI_IJLi5EEEEEEENSI_IJLi3ELi5ELi4EEEElEENS3_INS4_IJNS5_IS6_NS4_IJiS8_EEELb0EEESE_SG_EEENS4_IJSJ_SL_SK_EEESQ_SR_lEENS3_INS4_IJSU_SG_SG_EEESW_NS4_IJSN_NSI_IJLi3EEEENSI_IJLi4EEEEEEESO_lEELi128ELi128ELi16ELi4ELi4ELi4ELi1ENSI_IJLi8ELi2EEEES13_NSI_IJLi2ELi1ELi4ELi4EEEENSI_IJLi8ELi1ELi32ELi1EEEENSI_IJLi0ELi3ELi1ELi2EEEES16_NSI_IJLi1ELi1ELi4ELi1EEEES16_NSI_IJLi1ELi1ELi4ELi4EEEES14_S15_S16_S16_S17_S16_S18_NSI_IJLi0ELi1ELi2ELi3ELi4ELi5EEEELi5ELi4EEEaaNS3_INS4_IJSA_SE_SG_SG_NSB_INS4_IJiNS7_IiLi128EEEEEELb0EEENSF_ISC_EEEEENS4_IJSJ_SK_SL_SZ_SP_S10_EEENS4_IJSN_SO_SP_NSI_IJLi6EEEENSI_IJLi7ELi8EEEENSI_IJLi9EEEEEEENSI_IJLi6ELi7ELi8ELi9EEEElEENS3_INS4_IJSU_SE_SG_SG_S1D_S1E_EEENS4_IJSJ_SL_SK_SZ_SP_S10_EEES1K_S1L_lEENS3_INS4_IJSU_SG_SG_NSB_INS4_IJiNS7_IiLi2EEENS7_IiLi64EEEEEELb0EEES1T_EEENS4_IJSJ_SL_SK_SZ_S10_EEENS4_IJSN_SZ_S10_NSI_IJLi5ELi6ELi7EEEENSI_IJLi8ELi9ELi10EEEEEEENSI_IJLi5ELi6ELi7ELi8ELi9ELi10EEEElEENS_31BlockToCTileMap_M00_N00_M01_N01ILi128ELi128ES12_Lb0EEELb0ELb0EEEvPKT0_S25_PT1_T2_T3_T4_T5_.private_seg_size, 0
	.set _ZN2ck19kernel_gemm_dl_v1r3INS_28GridwiseGemmDl_km_kn_mn_v1r3ILi256EaiaLNS_25InMemoryDataOperationEnumE0ENS_16TensorDescriptorINS_5TupleIJNS_5EmbedINS4_IJiiEEENS4_IJNS_17integral_constantIiLi1EEEiEEELb0EEENS_7UnMergeINS4_IJiNS7_IiLi4EEEEEELb0EEENS_11PassThroughIiEEEEENS4_IJNS_8SequenceIJLi0EEEENSI_IJLi2EEEENSI_IJLi1EEEEEEENS4_IJNSI_IJLi1ELi2EEEENSI_IJLi3ELi4EEEENSI_IJLi5EEEEEEENSI_IJLi3ELi5ELi4EEEElEENS3_INS4_IJNS5_IS6_NS4_IJiS8_EEELb0EEESE_SG_EEENS4_IJSJ_SL_SK_EEESQ_SR_lEENS3_INS4_IJSU_SG_SG_EEESW_NS4_IJSN_NSI_IJLi3EEEENSI_IJLi4EEEEEEESO_lEELi128ELi128ELi16ELi4ELi4ELi4ELi1ENSI_IJLi8ELi2EEEES13_NSI_IJLi2ELi1ELi4ELi4EEEENSI_IJLi8ELi1ELi32ELi1EEEENSI_IJLi0ELi3ELi1ELi2EEEES16_NSI_IJLi1ELi1ELi4ELi1EEEES16_NSI_IJLi1ELi1ELi4ELi4EEEES14_S15_S16_S16_S17_S16_S18_NSI_IJLi0ELi1ELi2ELi3ELi4ELi5EEEELi5ELi4EEEaaNS3_INS4_IJSA_SE_SG_SG_NSB_INS4_IJiNS7_IiLi128EEEEEELb0EEENSF_ISC_EEEEENS4_IJSJ_SK_SL_SZ_SP_S10_EEENS4_IJSN_SO_SP_NSI_IJLi6EEEENSI_IJLi7ELi8EEEENSI_IJLi9EEEEEEENSI_IJLi6ELi7ELi8ELi9EEEElEENS3_INS4_IJSU_SE_SG_SG_S1D_S1E_EEENS4_IJSJ_SL_SK_SZ_SP_S10_EEES1K_S1L_lEENS3_INS4_IJSU_SG_SG_NSB_INS4_IJiNS7_IiLi2EEENS7_IiLi64EEEEEELb0EEES1T_EEENS4_IJSJ_SL_SK_SZ_S10_EEENS4_IJSN_SZ_S10_NSI_IJLi5ELi6ELi7EEEENSI_IJLi8ELi9ELi10EEEEEEENSI_IJLi5ELi6ELi7ELi8ELi9ELi10EEEElEENS_31BlockToCTileMap_M00_N00_M01_N01ILi128ELi128ES12_Lb0EEELb0ELb0EEEvPKT0_S25_PT1_T2_T3_T4_T5_.uses_vcc, 0
	.set _ZN2ck19kernel_gemm_dl_v1r3INS_28GridwiseGemmDl_km_kn_mn_v1r3ILi256EaiaLNS_25InMemoryDataOperationEnumE0ENS_16TensorDescriptorINS_5TupleIJNS_5EmbedINS4_IJiiEEENS4_IJNS_17integral_constantIiLi1EEEiEEELb0EEENS_7UnMergeINS4_IJiNS7_IiLi4EEEEEELb0EEENS_11PassThroughIiEEEEENS4_IJNS_8SequenceIJLi0EEEENSI_IJLi2EEEENSI_IJLi1EEEEEEENS4_IJNSI_IJLi1ELi2EEEENSI_IJLi3ELi4EEEENSI_IJLi5EEEEEEENSI_IJLi3ELi5ELi4EEEElEENS3_INS4_IJNS5_IS6_NS4_IJiS8_EEELb0EEESE_SG_EEENS4_IJSJ_SL_SK_EEESQ_SR_lEENS3_INS4_IJSU_SG_SG_EEESW_NS4_IJSN_NSI_IJLi3EEEENSI_IJLi4EEEEEEESO_lEELi128ELi128ELi16ELi4ELi4ELi4ELi1ENSI_IJLi8ELi2EEEES13_NSI_IJLi2ELi1ELi4ELi4EEEENSI_IJLi8ELi1ELi32ELi1EEEENSI_IJLi0ELi3ELi1ELi2EEEES16_NSI_IJLi1ELi1ELi4ELi1EEEES16_NSI_IJLi1ELi1ELi4ELi4EEEES14_S15_S16_S16_S17_S16_S18_NSI_IJLi0ELi1ELi2ELi3ELi4ELi5EEEELi5ELi4EEEaaNS3_INS4_IJSA_SE_SG_SG_NSB_INS4_IJiNS7_IiLi128EEEEEELb0EEENSF_ISC_EEEEENS4_IJSJ_SK_SL_SZ_SP_S10_EEENS4_IJSN_SO_SP_NSI_IJLi6EEEENSI_IJLi7ELi8EEEENSI_IJLi9EEEEEEENSI_IJLi6ELi7ELi8ELi9EEEElEENS3_INS4_IJSU_SE_SG_SG_S1D_S1E_EEENS4_IJSJ_SL_SK_SZ_SP_S10_EEES1K_S1L_lEENS3_INS4_IJSU_SG_SG_NSB_INS4_IJiNS7_IiLi2EEENS7_IiLi64EEEEEELb0EEES1T_EEENS4_IJSJ_SL_SK_SZ_S10_EEENS4_IJSN_SZ_S10_NSI_IJLi5ELi6ELi7EEEENSI_IJLi8ELi9ELi10EEEEEEENSI_IJLi5ELi6ELi7ELi8ELi9ELi10EEEElEENS_31BlockToCTileMap_M00_N00_M01_N01ILi128ELi128ES12_Lb0EEELb0ELb0EEEvPKT0_S25_PT1_T2_T3_T4_T5_.uses_flat_scratch, 0
	.set _ZN2ck19kernel_gemm_dl_v1r3INS_28GridwiseGemmDl_km_kn_mn_v1r3ILi256EaiaLNS_25InMemoryDataOperationEnumE0ENS_16TensorDescriptorINS_5TupleIJNS_5EmbedINS4_IJiiEEENS4_IJNS_17integral_constantIiLi1EEEiEEELb0EEENS_7UnMergeINS4_IJiNS7_IiLi4EEEEEELb0EEENS_11PassThroughIiEEEEENS4_IJNS_8SequenceIJLi0EEEENSI_IJLi2EEEENSI_IJLi1EEEEEEENS4_IJNSI_IJLi1ELi2EEEENSI_IJLi3ELi4EEEENSI_IJLi5EEEEEEENSI_IJLi3ELi5ELi4EEEElEENS3_INS4_IJNS5_IS6_NS4_IJiS8_EEELb0EEESE_SG_EEENS4_IJSJ_SL_SK_EEESQ_SR_lEENS3_INS4_IJSU_SG_SG_EEESW_NS4_IJSN_NSI_IJLi3EEEENSI_IJLi4EEEEEEESO_lEELi128ELi128ELi16ELi4ELi4ELi4ELi1ENSI_IJLi8ELi2EEEES13_NSI_IJLi2ELi1ELi4ELi4EEEENSI_IJLi8ELi1ELi32ELi1EEEENSI_IJLi0ELi3ELi1ELi2EEEES16_NSI_IJLi1ELi1ELi4ELi1EEEES16_NSI_IJLi1ELi1ELi4ELi4EEEES14_S15_S16_S16_S17_S16_S18_NSI_IJLi0ELi1ELi2ELi3ELi4ELi5EEEELi5ELi4EEEaaNS3_INS4_IJSA_SE_SG_SG_NSB_INS4_IJiNS7_IiLi128EEEEEELb0EEENSF_ISC_EEEEENS4_IJSJ_SK_SL_SZ_SP_S10_EEENS4_IJSN_SO_SP_NSI_IJLi6EEEENSI_IJLi7ELi8EEEENSI_IJLi9EEEEEEENSI_IJLi6ELi7ELi8ELi9EEEElEENS3_INS4_IJSU_SE_SG_SG_S1D_S1E_EEENS4_IJSJ_SL_SK_SZ_SP_S10_EEES1K_S1L_lEENS3_INS4_IJSU_SG_SG_NSB_INS4_IJiNS7_IiLi2EEENS7_IiLi64EEEEEELb0EEES1T_EEENS4_IJSJ_SL_SK_SZ_S10_EEENS4_IJSN_SZ_S10_NSI_IJLi5ELi6ELi7EEEENSI_IJLi8ELi9ELi10EEEEEEENSI_IJLi5ELi6ELi7ELi8ELi9ELi10EEEElEENS_31BlockToCTileMap_M00_N00_M01_N01ILi128ELi128ES12_Lb0EEELb0ELb0EEEvPKT0_S25_PT1_T2_T3_T4_T5_.has_dyn_sized_stack, 0
	.set _ZN2ck19kernel_gemm_dl_v1r3INS_28GridwiseGemmDl_km_kn_mn_v1r3ILi256EaiaLNS_25InMemoryDataOperationEnumE0ENS_16TensorDescriptorINS_5TupleIJNS_5EmbedINS4_IJiiEEENS4_IJNS_17integral_constantIiLi1EEEiEEELb0EEENS_7UnMergeINS4_IJiNS7_IiLi4EEEEEELb0EEENS_11PassThroughIiEEEEENS4_IJNS_8SequenceIJLi0EEEENSI_IJLi2EEEENSI_IJLi1EEEEEEENS4_IJNSI_IJLi1ELi2EEEENSI_IJLi3ELi4EEEENSI_IJLi5EEEEEEENSI_IJLi3ELi5ELi4EEEElEENS3_INS4_IJNS5_IS6_NS4_IJiS8_EEELb0EEESE_SG_EEENS4_IJSJ_SL_SK_EEESQ_SR_lEENS3_INS4_IJSU_SG_SG_EEESW_NS4_IJSN_NSI_IJLi3EEEENSI_IJLi4EEEEEEESO_lEELi128ELi128ELi16ELi4ELi4ELi4ELi1ENSI_IJLi8ELi2EEEES13_NSI_IJLi2ELi1ELi4ELi4EEEENSI_IJLi8ELi1ELi32ELi1EEEENSI_IJLi0ELi3ELi1ELi2EEEES16_NSI_IJLi1ELi1ELi4ELi1EEEES16_NSI_IJLi1ELi1ELi4ELi4EEEES14_S15_S16_S16_S17_S16_S18_NSI_IJLi0ELi1ELi2ELi3ELi4ELi5EEEELi5ELi4EEEaaNS3_INS4_IJSA_SE_SG_SG_NSB_INS4_IJiNS7_IiLi128EEEEEELb0EEENSF_ISC_EEEEENS4_IJSJ_SK_SL_SZ_SP_S10_EEENS4_IJSN_SO_SP_NSI_IJLi6EEEENSI_IJLi7ELi8EEEENSI_IJLi9EEEEEEENSI_IJLi6ELi7ELi8ELi9EEEElEENS3_INS4_IJSU_SE_SG_SG_S1D_S1E_EEENS4_IJSJ_SL_SK_SZ_SP_S10_EEES1K_S1L_lEENS3_INS4_IJSU_SG_SG_NSB_INS4_IJiNS7_IiLi2EEENS7_IiLi64EEEEEELb0EEES1T_EEENS4_IJSJ_SL_SK_SZ_S10_EEENS4_IJSN_SZ_S10_NSI_IJLi5ELi6ELi7EEEENSI_IJLi8ELi9ELi10EEEEEEENSI_IJLi5ELi6ELi7ELi8ELi9ELi10EEEElEENS_31BlockToCTileMap_M00_N00_M01_N01ILi128ELi128ES12_Lb0EEELb0ELb0EEEvPKT0_S25_PT1_T2_T3_T4_T5_.has_recursion, 0
	.set _ZN2ck19kernel_gemm_dl_v1r3INS_28GridwiseGemmDl_km_kn_mn_v1r3ILi256EaiaLNS_25InMemoryDataOperationEnumE0ENS_16TensorDescriptorINS_5TupleIJNS_5EmbedINS4_IJiiEEENS4_IJNS_17integral_constantIiLi1EEEiEEELb0EEENS_7UnMergeINS4_IJiNS7_IiLi4EEEEEELb0EEENS_11PassThroughIiEEEEENS4_IJNS_8SequenceIJLi0EEEENSI_IJLi2EEEENSI_IJLi1EEEEEEENS4_IJNSI_IJLi1ELi2EEEENSI_IJLi3ELi4EEEENSI_IJLi5EEEEEEENSI_IJLi3ELi5ELi4EEEElEENS3_INS4_IJNS5_IS6_NS4_IJiS8_EEELb0EEESE_SG_EEENS4_IJSJ_SL_SK_EEESQ_SR_lEENS3_INS4_IJSU_SG_SG_EEESW_NS4_IJSN_NSI_IJLi3EEEENSI_IJLi4EEEEEEESO_lEELi128ELi128ELi16ELi4ELi4ELi4ELi1ENSI_IJLi8ELi2EEEES13_NSI_IJLi2ELi1ELi4ELi4EEEENSI_IJLi8ELi1ELi32ELi1EEEENSI_IJLi0ELi3ELi1ELi2EEEES16_NSI_IJLi1ELi1ELi4ELi1EEEES16_NSI_IJLi1ELi1ELi4ELi4EEEES14_S15_S16_S16_S17_S16_S18_NSI_IJLi0ELi1ELi2ELi3ELi4ELi5EEEELi5ELi4EEEaaNS3_INS4_IJSA_SE_SG_SG_NSB_INS4_IJiNS7_IiLi128EEEEEELb0EEENSF_ISC_EEEEENS4_IJSJ_SK_SL_SZ_SP_S10_EEENS4_IJSN_SO_SP_NSI_IJLi6EEEENSI_IJLi7ELi8EEEENSI_IJLi9EEEEEEENSI_IJLi6ELi7ELi8ELi9EEEElEENS3_INS4_IJSU_SE_SG_SG_S1D_S1E_EEENS4_IJSJ_SL_SK_SZ_SP_S10_EEES1K_S1L_lEENS3_INS4_IJSU_SG_SG_NSB_INS4_IJiNS7_IiLi2EEENS7_IiLi64EEEEEELb0EEES1T_EEENS4_IJSJ_SL_SK_SZ_S10_EEENS4_IJSN_SZ_S10_NSI_IJLi5ELi6ELi7EEEENSI_IJLi8ELi9ELi10EEEEEEENSI_IJLi5ELi6ELi7ELi8ELi9ELi10EEEElEENS_31BlockToCTileMap_M00_N00_M01_N01ILi128ELi128ES12_Lb0EEELb0ELb0EEEvPKT0_S25_PT1_T2_T3_T4_T5_.has_indirect_call, 0
	.section	.AMDGPU.csdata,"",@progbits
; Kernel info:
; codeLenInByte = 7140
; TotalNumSgprs: 35
; NumVgprs: 124
; ScratchSize: 0
; MemoryBound: 0
; FloatMode: 240
; IeeeMode: 1
; LDSByteSize: 32768 bytes/workgroup (compile time only)
; SGPRBlocks: 0
; VGPRBlocks: 15
; NumSGPRsForWavesPerEU: 35
; NumVGPRsForWavesPerEU: 124
; Occupancy: 8
; WaveLimiterHint : 0
; COMPUTE_PGM_RSRC2:SCRATCH_EN: 0
; COMPUTE_PGM_RSRC2:USER_SGPR: 6
; COMPUTE_PGM_RSRC2:TRAP_HANDLER: 0
; COMPUTE_PGM_RSRC2:TGID_X_EN: 1
; COMPUTE_PGM_RSRC2:TGID_Y_EN: 0
; COMPUTE_PGM_RSRC2:TGID_Z_EN: 0
; COMPUTE_PGM_RSRC2:TIDIG_COMP_CNT: 0
	.section	.text._ZN2ck17naive_gemm_kernelINS_13tensor_layout4gemm11ColumnMajorENS2_8RowMajorES4_aaaiNS_16tensor_operation12element_wise11PassThroughES7_S7_aaEEvPKT2_PKT3_PT4_iiiT6_T7_T8_,"axG",@progbits,_ZN2ck17naive_gemm_kernelINS_13tensor_layout4gemm11ColumnMajorENS2_8RowMajorES4_aaaiNS_16tensor_operation12element_wise11PassThroughES7_S7_aaEEvPKT2_PKT3_PT4_iiiT6_T7_T8_,comdat
	.protected	_ZN2ck17naive_gemm_kernelINS_13tensor_layout4gemm11ColumnMajorENS2_8RowMajorES4_aaaiNS_16tensor_operation12element_wise11PassThroughES7_S7_aaEEvPKT2_PKT3_PT4_iiiT6_T7_T8_ ; -- Begin function _ZN2ck17naive_gemm_kernelINS_13tensor_layout4gemm11ColumnMajorENS2_8RowMajorES4_aaaiNS_16tensor_operation12element_wise11PassThroughES7_S7_aaEEvPKT2_PKT3_PT4_iiiT6_T7_T8_
	.globl	_ZN2ck17naive_gemm_kernelINS_13tensor_layout4gemm11ColumnMajorENS2_8RowMajorES4_aaaiNS_16tensor_operation12element_wise11PassThroughES7_S7_aaEEvPKT2_PKT3_PT4_iiiT6_T7_T8_
	.p2align	8
	.type	_ZN2ck17naive_gemm_kernelINS_13tensor_layout4gemm11ColumnMajorENS2_8RowMajorES4_aaaiNS_16tensor_operation12element_wise11PassThroughES7_S7_aaEEvPKT2_PKT3_PT4_iiiT6_T7_T8_,@function
_ZN2ck17naive_gemm_kernelINS_13tensor_layout4gemm11ColumnMajorENS2_8RowMajorES4_aaaiNS_16tensor_operation12element_wise11PassThroughES7_S7_aaEEvPKT2_PKT3_PT4_iiiT6_T7_T8_: ; @_ZN2ck17naive_gemm_kernelINS_13tensor_layout4gemm11ColumnMajorENS2_8RowMajorES4_aaaiNS_16tensor_operation12element_wise11PassThroughES7_S7_aaEEvPKT2_PKT3_PT4_iiiT6_T7_T8_
; %bb.0:
	s_clause 0x1
	s_load_dword s0, s[4:5], 0x34
	s_load_dwordx4 s[8:11], s[4:5], 0x18
	s_waitcnt lgkmcnt(0)
	s_lshr_b32 s1, s0, 16
	s_and_b32 s0, s0, 0xffff
	v_mad_u64_u32 v[2:3], null, s6, s0, v[0:1]
	v_mad_u64_u32 v[0:1], null, s7, s1, v[1:2]
	v_cmp_gt_i32_e32 vcc_lo, s8, v2
	v_cmp_gt_i32_e64 s0, s9, v0
	s_and_b32 s0, vcc_lo, s0
	s_and_saveexec_b32 s1, s0
	s_cbranch_execz .LBB5_6
; %bb.1:
	s_load_dwordx2 s[2:3], s[4:5], 0x10
	s_cmp_lt_i32 s10, 1
	s_cbranch_scc1 .LBB5_4
; %bb.2:
	s_load_dwordx4 s[4:7], s[4:5], 0x0
	v_mov_b32_e32 v1, 0
	v_mov_b32_e32 v3, v2
	;; [unrolled: 1-line block ×3, first 2 shown]
	.p2align	6
.LBB5_3:                                ; =>This Inner Loop Header: Depth=1
	v_ashrrev_i32_e32 v6, 31, v3
	v_ashrrev_i32_e32 v9, 31, v4
	s_waitcnt lgkmcnt(0)
	v_add_co_u32 v7, s0, s4, v3
	v_add_co_u32 v5, vcc_lo, s6, v4
	v_add_co_ci_u32_e64 v8, null, s5, v6, s0
	v_add_co_ci_u32_e64 v6, null, s7, v9, vcc_lo
	global_load_ubyte v7, v[7:8], off
	global_load_ubyte v5, v[5:6], off
	v_add_nc_u32_e32 v4, s9, v4
	v_add_nc_u32_e32 v3, s8, v3
	s_add_i32 s10, s10, -1
	s_cmp_eq_u32 s10, 0
	s_waitcnt vmcnt(0)
	v_mad_u32_u24 v1, v5, v7, v1
	s_cbranch_scc0 .LBB5_3
	s_branch .LBB5_5
.LBB5_4:
	v_mov_b32_e32 v1, 0
.LBB5_5:
	v_mad_u64_u32 v[2:3], null, v2, s9, v[0:1]
	v_ashrrev_i32_e32 v0, 31, v2
	s_waitcnt lgkmcnt(0)
	v_add_co_u32 v2, vcc_lo, s2, v2
	v_add_co_ci_u32_e64 v3, null, s3, v0, vcc_lo
	global_store_byte v[2:3], v1, off
.LBB5_6:
	s_endpgm
	.section	.rodata,"a",@progbits
	.p2align	6, 0x0
	.amdhsa_kernel _ZN2ck17naive_gemm_kernelINS_13tensor_layout4gemm11ColumnMajorENS2_8RowMajorES4_aaaiNS_16tensor_operation12element_wise11PassThroughES7_S7_aaEEvPKT2_PKT3_PT4_iiiT6_T7_T8_
		.amdhsa_group_segment_fixed_size 0
		.amdhsa_private_segment_fixed_size 0
		.amdhsa_kernarg_size 296
		.amdhsa_user_sgpr_count 6
		.amdhsa_user_sgpr_private_segment_buffer 1
		.amdhsa_user_sgpr_dispatch_ptr 0
		.amdhsa_user_sgpr_queue_ptr 0
		.amdhsa_user_sgpr_kernarg_segment_ptr 1
		.amdhsa_user_sgpr_dispatch_id 0
		.amdhsa_user_sgpr_flat_scratch_init 0
		.amdhsa_user_sgpr_private_segment_size 0
		.amdhsa_wavefront_size32 1
		.amdhsa_uses_dynamic_stack 0
		.amdhsa_system_sgpr_private_segment_wavefront_offset 0
		.amdhsa_system_sgpr_workgroup_id_x 1
		.amdhsa_system_sgpr_workgroup_id_y 1
		.amdhsa_system_sgpr_workgroup_id_z 0
		.amdhsa_system_sgpr_workgroup_info 0
		.amdhsa_system_vgpr_workitem_id 1
		.amdhsa_next_free_vgpr 10
		.amdhsa_next_free_sgpr 12
		.amdhsa_reserve_vcc 1
		.amdhsa_reserve_flat_scratch 0
		.amdhsa_float_round_mode_32 0
		.amdhsa_float_round_mode_16_64 0
		.amdhsa_float_denorm_mode_32 3
		.amdhsa_float_denorm_mode_16_64 3
		.amdhsa_dx10_clamp 1
		.amdhsa_ieee_mode 1
		.amdhsa_fp16_overflow 0
		.amdhsa_workgroup_processor_mode 1
		.amdhsa_memory_ordered 1
		.amdhsa_forward_progress 1
		.amdhsa_shared_vgpr_count 0
		.amdhsa_exception_fp_ieee_invalid_op 0
		.amdhsa_exception_fp_denorm_src 0
		.amdhsa_exception_fp_ieee_div_zero 0
		.amdhsa_exception_fp_ieee_overflow 0
		.amdhsa_exception_fp_ieee_underflow 0
		.amdhsa_exception_fp_ieee_inexact 0
		.amdhsa_exception_int_div_zero 0
	.end_amdhsa_kernel
	.section	.text._ZN2ck17naive_gemm_kernelINS_13tensor_layout4gemm11ColumnMajorENS2_8RowMajorES4_aaaiNS_16tensor_operation12element_wise11PassThroughES7_S7_aaEEvPKT2_PKT3_PT4_iiiT6_T7_T8_,"axG",@progbits,_ZN2ck17naive_gemm_kernelINS_13tensor_layout4gemm11ColumnMajorENS2_8RowMajorES4_aaaiNS_16tensor_operation12element_wise11PassThroughES7_S7_aaEEvPKT2_PKT3_PT4_iiiT6_T7_T8_,comdat
.Lfunc_end5:
	.size	_ZN2ck17naive_gemm_kernelINS_13tensor_layout4gemm11ColumnMajorENS2_8RowMajorES4_aaaiNS_16tensor_operation12element_wise11PassThroughES7_S7_aaEEvPKT2_PKT3_PT4_iiiT6_T7_T8_, .Lfunc_end5-_ZN2ck17naive_gemm_kernelINS_13tensor_layout4gemm11ColumnMajorENS2_8RowMajorES4_aaaiNS_16tensor_operation12element_wise11PassThroughES7_S7_aaEEvPKT2_PKT3_PT4_iiiT6_T7_T8_
                                        ; -- End function
	.set _ZN2ck17naive_gemm_kernelINS_13tensor_layout4gemm11ColumnMajorENS2_8RowMajorES4_aaaiNS_16tensor_operation12element_wise11PassThroughES7_S7_aaEEvPKT2_PKT3_PT4_iiiT6_T7_T8_.num_vgpr, 10
	.set _ZN2ck17naive_gemm_kernelINS_13tensor_layout4gemm11ColumnMajorENS2_8RowMajorES4_aaaiNS_16tensor_operation12element_wise11PassThroughES7_S7_aaEEvPKT2_PKT3_PT4_iiiT6_T7_T8_.num_agpr, 0
	.set _ZN2ck17naive_gemm_kernelINS_13tensor_layout4gemm11ColumnMajorENS2_8RowMajorES4_aaaiNS_16tensor_operation12element_wise11PassThroughES7_S7_aaEEvPKT2_PKT3_PT4_iiiT6_T7_T8_.numbered_sgpr, 12
	.set _ZN2ck17naive_gemm_kernelINS_13tensor_layout4gemm11ColumnMajorENS2_8RowMajorES4_aaaiNS_16tensor_operation12element_wise11PassThroughES7_S7_aaEEvPKT2_PKT3_PT4_iiiT6_T7_T8_.num_named_barrier, 0
	.set _ZN2ck17naive_gemm_kernelINS_13tensor_layout4gemm11ColumnMajorENS2_8RowMajorES4_aaaiNS_16tensor_operation12element_wise11PassThroughES7_S7_aaEEvPKT2_PKT3_PT4_iiiT6_T7_T8_.private_seg_size, 0
	.set _ZN2ck17naive_gemm_kernelINS_13tensor_layout4gemm11ColumnMajorENS2_8RowMajorES4_aaaiNS_16tensor_operation12element_wise11PassThroughES7_S7_aaEEvPKT2_PKT3_PT4_iiiT6_T7_T8_.uses_vcc, 1
	.set _ZN2ck17naive_gemm_kernelINS_13tensor_layout4gemm11ColumnMajorENS2_8RowMajorES4_aaaiNS_16tensor_operation12element_wise11PassThroughES7_S7_aaEEvPKT2_PKT3_PT4_iiiT6_T7_T8_.uses_flat_scratch, 0
	.set _ZN2ck17naive_gemm_kernelINS_13tensor_layout4gemm11ColumnMajorENS2_8RowMajorES4_aaaiNS_16tensor_operation12element_wise11PassThroughES7_S7_aaEEvPKT2_PKT3_PT4_iiiT6_T7_T8_.has_dyn_sized_stack, 0
	.set _ZN2ck17naive_gemm_kernelINS_13tensor_layout4gemm11ColumnMajorENS2_8RowMajorES4_aaaiNS_16tensor_operation12element_wise11PassThroughES7_S7_aaEEvPKT2_PKT3_PT4_iiiT6_T7_T8_.has_recursion, 0
	.set _ZN2ck17naive_gemm_kernelINS_13tensor_layout4gemm11ColumnMajorENS2_8RowMajorES4_aaaiNS_16tensor_operation12element_wise11PassThroughES7_S7_aaEEvPKT2_PKT3_PT4_iiiT6_T7_T8_.has_indirect_call, 0
	.section	.AMDGPU.csdata,"",@progbits
; Kernel info:
; codeLenInByte = 272
; TotalNumSgprs: 14
; NumVgprs: 10
; ScratchSize: 0
; MemoryBound: 0
; FloatMode: 240
; IeeeMode: 1
; LDSByteSize: 0 bytes/workgroup (compile time only)
; SGPRBlocks: 0
; VGPRBlocks: 1
; NumSGPRsForWavesPerEU: 14
; NumVGPRsForWavesPerEU: 10
; Occupancy: 16
; WaveLimiterHint : 0
; COMPUTE_PGM_RSRC2:SCRATCH_EN: 0
; COMPUTE_PGM_RSRC2:USER_SGPR: 6
; COMPUTE_PGM_RSRC2:TRAP_HANDLER: 0
; COMPUTE_PGM_RSRC2:TGID_X_EN: 1
; COMPUTE_PGM_RSRC2:TGID_Y_EN: 1
; COMPUTE_PGM_RSRC2:TGID_Z_EN: 0
; COMPUTE_PGM_RSRC2:TIDIG_COMP_CNT: 1
	.section	.AMDGPU.gpr_maximums,"",@progbits
	.set amdgpu.max_num_vgpr, 0
	.set amdgpu.max_num_agpr, 0
	.set amdgpu.max_num_sgpr, 0
	.section	.AMDGPU.csdata,"",@progbits
	.type	__hip_cuid_ea41061c3fbe1286,@object ; @__hip_cuid_ea41061c3fbe1286
	.section	.bss,"aw",@nobits
	.globl	__hip_cuid_ea41061c3fbe1286
__hip_cuid_ea41061c3fbe1286:
	.byte	0                               ; 0x0
	.size	__hip_cuid_ea41061c3fbe1286, 1

	.ident	"AMD clang version 22.0.0git (https://github.com/RadeonOpenCompute/llvm-project roc-7.2.4 26084 f58b06dce1f9c15707c5f808fd002e18c2accf7e)"
	.section	".note.GNU-stack","",@progbits
	.addrsig
	.addrsig_sym __hip_cuid_ea41061c3fbe1286
	.amdgpu_metadata
---
amdhsa.kernels:
  - .args:           []
    .group_segment_fixed_size: 0
    .kernarg_segment_align: 4
    .kernarg_segment_size: 0
    .language:       OpenCL C
    .language_version:
      - 2
      - 0
    .max_flat_workgroup_size: 1024
    .name:           _ZN2ckL12flush_icacheEv
    .private_segment_fixed_size: 0
    .sgpr_count:     0
    .sgpr_spill_count: 0
    .symbol:         _ZN2ckL12flush_icacheEv.kd
    .uniform_work_group_size: 1
    .uses_dynamic_stack: false
    .vgpr_count:     0
    .vgpr_spill_count: 0
    .wavefront_size: 32
    .workgroup_processor_mode: 1
  - .args:
      - .actual_access:  read_only
        .address_space:  global
        .offset:         0
        .size:           8
        .value_kind:     global_buffer
      - .actual_access:  read_only
        .address_space:  global
        .offset:         8
        .size:           8
        .value_kind:     global_buffer
      - .actual_access:  write_only
        .address_space:  global
        .offset:         16
        .size:           8
        .value_kind:     global_buffer
      - .offset:         24
        .size:           64
        .value_kind:     by_value
      - .offset:         88
        .size:           64
        .value_kind:     by_value
      - .offset:         152
        .size:           64
        .value_kind:     by_value
      - .offset:         216
        .size:           112
        .value_kind:     by_value
    .group_segment_fixed_size: 32768
    .kernarg_segment_align: 8
    .kernarg_segment_size: 328
    .language:       OpenCL C
    .language_version:
      - 2
      - 0
    .max_flat_workgroup_size: 256
    .name:           _ZN2ck19kernel_gemm_dl_v1r3INS_28GridwiseGemmDl_km_kn_mn_v1r3ILi256EaiaLNS_25InMemoryDataOperationEnumE0ENS_16TensorDescriptorINS_5TupleIJNS_5EmbedINS4_IJiiEEENS4_IJNS_17integral_constantIiLi1EEEiEEELb0EEENS_7UnMergeINS4_IJiNS7_IiLi4EEEEEELb0EEENS_11PassThroughIiEEEEENS4_IJNS_8SequenceIJLi0EEEENSI_IJLi2EEEENSI_IJLi1EEEEEEENS4_IJNSI_IJLi1ELi2EEEENSI_IJLi3ELi4EEEENSI_IJLi5EEEEEEENSI_IJLi3ELi5ELi4EEEElEENS3_INS4_IJNS5_IS6_NS4_IJiS8_EEELb0EEESE_SG_EEENS4_IJSJ_SL_SK_EEESQ_SR_lEENS3_INS4_IJSU_SG_SG_EEESW_NS4_IJSN_NSI_IJLi3EEEENSI_IJLi4EEEEEEESO_lEELi128ELi128ELi16ELi4ELi4ELi4ELi1ENSI_IJLi8ELi2EEEES13_NSI_IJLi2ELi1ELi4ELi4EEEENSI_IJLi8ELi1ELi32ELi1EEEENSI_IJLi0ELi3ELi1ELi2EEEES16_NSI_IJLi1ELi1ELi4ELi1EEEES16_NSI_IJLi1ELi1ELi4ELi4EEEES14_S15_S16_S16_S17_S16_S18_NSI_IJLi0ELi1ELi2ELi3ELi4ELi5EEEELi5ELi4EEEaaNS3_INS4_IJSA_SE_SG_SG_NSB_INS4_IJiNS7_IiLi128EEEEEELb0EEENSF_ISC_EEEEENS4_IJSJ_SK_SL_SZ_SP_S10_EEENS4_IJSN_SO_SP_NSI_IJLi6EEEENSI_IJLi7ELi8EEEENSI_IJLi9EEEEEEENSI_IJLi6ELi7ELi8ELi9EEEElEENS3_INS4_IJSU_SE_SG_SG_S1D_S1E_EEENS4_IJSJ_SL_SK_SZ_SP_S10_EEES1K_S1L_lEENS3_INS4_IJSU_SG_SG_NSB_INS4_IJiNS7_IiLi2EEENS7_IiLi64EEEEEELb0EEES1T_EEENS4_IJSJ_SL_SK_SZ_S10_EEENS4_IJSN_SZ_S10_NSI_IJLi5ELi6ELi7EEEENSI_IJLi8ELi9ELi10EEEEEEENSI_IJLi5ELi6ELi7ELi8ELi9ELi10EEEElEENS_31BlockToCTileMap_M00_N00_M01_N01ILi128ELi128ES12_Lb0EEELb1ELb1EEEvPKT0_S25_PT1_T2_T3_T4_T5_
    .private_segment_fixed_size: 0
    .sgpr_count:     32
    .sgpr_spill_count: 0
    .symbol:         _ZN2ck19kernel_gemm_dl_v1r3INS_28GridwiseGemmDl_km_kn_mn_v1r3ILi256EaiaLNS_25InMemoryDataOperationEnumE0ENS_16TensorDescriptorINS_5TupleIJNS_5EmbedINS4_IJiiEEENS4_IJNS_17integral_constantIiLi1EEEiEEELb0EEENS_7UnMergeINS4_IJiNS7_IiLi4EEEEEELb0EEENS_11PassThroughIiEEEEENS4_IJNS_8SequenceIJLi0EEEENSI_IJLi2EEEENSI_IJLi1EEEEEEENS4_IJNSI_IJLi1ELi2EEEENSI_IJLi3ELi4EEEENSI_IJLi5EEEEEEENSI_IJLi3ELi5ELi4EEEElEENS3_INS4_IJNS5_IS6_NS4_IJiS8_EEELb0EEESE_SG_EEENS4_IJSJ_SL_SK_EEESQ_SR_lEENS3_INS4_IJSU_SG_SG_EEESW_NS4_IJSN_NSI_IJLi3EEEENSI_IJLi4EEEEEEESO_lEELi128ELi128ELi16ELi4ELi4ELi4ELi1ENSI_IJLi8ELi2EEEES13_NSI_IJLi2ELi1ELi4ELi4EEEENSI_IJLi8ELi1ELi32ELi1EEEENSI_IJLi0ELi3ELi1ELi2EEEES16_NSI_IJLi1ELi1ELi4ELi1EEEES16_NSI_IJLi1ELi1ELi4ELi4EEEES14_S15_S16_S16_S17_S16_S18_NSI_IJLi0ELi1ELi2ELi3ELi4ELi5EEEELi5ELi4EEEaaNS3_INS4_IJSA_SE_SG_SG_NSB_INS4_IJiNS7_IiLi128EEEEEELb0EEENSF_ISC_EEEEENS4_IJSJ_SK_SL_SZ_SP_S10_EEENS4_IJSN_SO_SP_NSI_IJLi6EEEENSI_IJLi7ELi8EEEENSI_IJLi9EEEEEEENSI_IJLi6ELi7ELi8ELi9EEEElEENS3_INS4_IJSU_SE_SG_SG_S1D_S1E_EEENS4_IJSJ_SL_SK_SZ_SP_S10_EEES1K_S1L_lEENS3_INS4_IJSU_SG_SG_NSB_INS4_IJiNS7_IiLi2EEENS7_IiLi64EEEEEELb0EEES1T_EEENS4_IJSJ_SL_SK_SZ_S10_EEENS4_IJSN_SZ_S10_NSI_IJLi5ELi6ELi7EEEENSI_IJLi8ELi9ELi10EEEEEEENSI_IJLi5ELi6ELi7ELi8ELi9ELi10EEEElEENS_31BlockToCTileMap_M00_N00_M01_N01ILi128ELi128ES12_Lb0EEELb1ELb1EEEvPKT0_S25_PT1_T2_T3_T4_T5_.kd
    .uniform_work_group_size: 1
    .uses_dynamic_stack: false
    .vgpr_count:     143
    .vgpr_spill_count: 0
    .wavefront_size: 32
    .workgroup_processor_mode: 1
  - .args:
      - .actual_access:  read_only
        .address_space:  global
        .offset:         0
        .size:           8
        .value_kind:     global_buffer
      - .actual_access:  read_only
        .address_space:  global
        .offset:         8
        .size:           8
        .value_kind:     global_buffer
      - .actual_access:  write_only
        .address_space:  global
        .offset:         16
        .size:           8
        .value_kind:     global_buffer
      - .offset:         24
        .size:           64
        .value_kind:     by_value
      - .offset:         88
        .size:           64
        .value_kind:     by_value
      - .offset:         152
        .size:           64
        .value_kind:     by_value
      - .offset:         216
        .size:           112
        .value_kind:     by_value
    .group_segment_fixed_size: 32768
    .kernarg_segment_align: 8
    .kernarg_segment_size: 328
    .language:       OpenCL C
    .language_version:
      - 2
      - 0
    .max_flat_workgroup_size: 256
    .name:           _ZN2ck19kernel_gemm_dl_v1r3INS_28GridwiseGemmDl_km_kn_mn_v1r3ILi256EaiaLNS_25InMemoryDataOperationEnumE0ENS_16TensorDescriptorINS_5TupleIJNS_5EmbedINS4_IJiiEEENS4_IJNS_17integral_constantIiLi1EEEiEEELb0EEENS_7UnMergeINS4_IJiNS7_IiLi4EEEEEELb0EEENS_11PassThroughIiEEEEENS4_IJNS_8SequenceIJLi0EEEENSI_IJLi2EEEENSI_IJLi1EEEEEEENS4_IJNSI_IJLi1ELi2EEEENSI_IJLi3ELi4EEEENSI_IJLi5EEEEEEENSI_IJLi3ELi5ELi4EEEElEENS3_INS4_IJNS5_IS6_NS4_IJiS8_EEELb0EEESE_SG_EEENS4_IJSJ_SL_SK_EEESQ_SR_lEENS3_INS4_IJSU_SG_SG_EEESW_NS4_IJSN_NSI_IJLi3EEEENSI_IJLi4EEEEEEESO_lEELi128ELi128ELi16ELi4ELi4ELi4ELi1ENSI_IJLi8ELi2EEEES13_NSI_IJLi2ELi1ELi4ELi4EEEENSI_IJLi8ELi1ELi32ELi1EEEENSI_IJLi0ELi3ELi1ELi2EEEES16_NSI_IJLi1ELi1ELi4ELi1EEEES16_NSI_IJLi1ELi1ELi4ELi4EEEES14_S15_S16_S16_S17_S16_S18_NSI_IJLi0ELi1ELi2ELi3ELi4ELi5EEEELi5ELi4EEEaaNS3_INS4_IJSA_SE_SG_SG_NSB_INS4_IJiNS7_IiLi128EEEEEELb0EEENSF_ISC_EEEEENS4_IJSJ_SK_SL_SZ_SP_S10_EEENS4_IJSN_SO_SP_NSI_IJLi6EEEENSI_IJLi7ELi8EEEENSI_IJLi9EEEEEEENSI_IJLi6ELi7ELi8ELi9EEEElEENS3_INS4_IJSU_SE_SG_SG_S1D_S1E_EEENS4_IJSJ_SL_SK_SZ_SP_S10_EEES1K_S1L_lEENS3_INS4_IJSU_SG_SG_NSB_INS4_IJiNS7_IiLi2EEENS7_IiLi64EEEEEELb0EEES1T_EEENS4_IJSJ_SL_SK_SZ_S10_EEENS4_IJSN_SZ_S10_NSI_IJLi5ELi6ELi7EEEENSI_IJLi8ELi9ELi10EEEEEEENSI_IJLi5ELi6ELi7ELi8ELi9ELi10EEEElEENS_31BlockToCTileMap_M00_N00_M01_N01ILi128ELi128ES12_Lb0EEELb1ELb0EEEvPKT0_S25_PT1_T2_T3_T4_T5_
    .private_segment_fixed_size: 0
    .sgpr_count:     32
    .sgpr_spill_count: 0
    .symbol:         _ZN2ck19kernel_gemm_dl_v1r3INS_28GridwiseGemmDl_km_kn_mn_v1r3ILi256EaiaLNS_25InMemoryDataOperationEnumE0ENS_16TensorDescriptorINS_5TupleIJNS_5EmbedINS4_IJiiEEENS4_IJNS_17integral_constantIiLi1EEEiEEELb0EEENS_7UnMergeINS4_IJiNS7_IiLi4EEEEEELb0EEENS_11PassThroughIiEEEEENS4_IJNS_8SequenceIJLi0EEEENSI_IJLi2EEEENSI_IJLi1EEEEEEENS4_IJNSI_IJLi1ELi2EEEENSI_IJLi3ELi4EEEENSI_IJLi5EEEEEEENSI_IJLi3ELi5ELi4EEEElEENS3_INS4_IJNS5_IS6_NS4_IJiS8_EEELb0EEESE_SG_EEENS4_IJSJ_SL_SK_EEESQ_SR_lEENS3_INS4_IJSU_SG_SG_EEESW_NS4_IJSN_NSI_IJLi3EEEENSI_IJLi4EEEEEEESO_lEELi128ELi128ELi16ELi4ELi4ELi4ELi1ENSI_IJLi8ELi2EEEES13_NSI_IJLi2ELi1ELi4ELi4EEEENSI_IJLi8ELi1ELi32ELi1EEEENSI_IJLi0ELi3ELi1ELi2EEEES16_NSI_IJLi1ELi1ELi4ELi1EEEES16_NSI_IJLi1ELi1ELi4ELi4EEEES14_S15_S16_S16_S17_S16_S18_NSI_IJLi0ELi1ELi2ELi3ELi4ELi5EEEELi5ELi4EEEaaNS3_INS4_IJSA_SE_SG_SG_NSB_INS4_IJiNS7_IiLi128EEEEEELb0EEENSF_ISC_EEEEENS4_IJSJ_SK_SL_SZ_SP_S10_EEENS4_IJSN_SO_SP_NSI_IJLi6EEEENSI_IJLi7ELi8EEEENSI_IJLi9EEEEEEENSI_IJLi6ELi7ELi8ELi9EEEElEENS3_INS4_IJSU_SE_SG_SG_S1D_S1E_EEENS4_IJSJ_SL_SK_SZ_SP_S10_EEES1K_S1L_lEENS3_INS4_IJSU_SG_SG_NSB_INS4_IJiNS7_IiLi2EEENS7_IiLi64EEEEEELb0EEES1T_EEENS4_IJSJ_SL_SK_SZ_S10_EEENS4_IJSN_SZ_S10_NSI_IJLi5ELi6ELi7EEEENSI_IJLi8ELi9ELi10EEEEEEENSI_IJLi5ELi6ELi7ELi8ELi9ELi10EEEElEENS_31BlockToCTileMap_M00_N00_M01_N01ILi128ELi128ES12_Lb0EEELb1ELb0EEEvPKT0_S25_PT1_T2_T3_T4_T5_.kd
    .uniform_work_group_size: 1
    .uses_dynamic_stack: false
    .vgpr_count:     135
    .vgpr_spill_count: 0
    .wavefront_size: 32
    .workgroup_processor_mode: 1
  - .args:
      - .actual_access:  read_only
        .address_space:  global
        .offset:         0
        .size:           8
        .value_kind:     global_buffer
      - .actual_access:  read_only
        .address_space:  global
        .offset:         8
        .size:           8
        .value_kind:     global_buffer
      - .actual_access:  write_only
        .address_space:  global
        .offset:         16
        .size:           8
        .value_kind:     global_buffer
      - .offset:         24
        .size:           64
        .value_kind:     by_value
      - .offset:         88
        .size:           64
        .value_kind:     by_value
      - .offset:         152
        .size:           64
        .value_kind:     by_value
      - .offset:         216
        .size:           112
        .value_kind:     by_value
    .group_segment_fixed_size: 32768
    .kernarg_segment_align: 8
    .kernarg_segment_size: 328
    .language:       OpenCL C
    .language_version:
      - 2
      - 0
    .max_flat_workgroup_size: 256
    .name:           _ZN2ck19kernel_gemm_dl_v1r3INS_28GridwiseGemmDl_km_kn_mn_v1r3ILi256EaiaLNS_25InMemoryDataOperationEnumE0ENS_16TensorDescriptorINS_5TupleIJNS_5EmbedINS4_IJiiEEENS4_IJNS_17integral_constantIiLi1EEEiEEELb0EEENS_7UnMergeINS4_IJiNS7_IiLi4EEEEEELb0EEENS_11PassThroughIiEEEEENS4_IJNS_8SequenceIJLi0EEEENSI_IJLi2EEEENSI_IJLi1EEEEEEENS4_IJNSI_IJLi1ELi2EEEENSI_IJLi3ELi4EEEENSI_IJLi5EEEEEEENSI_IJLi3ELi5ELi4EEEElEENS3_INS4_IJNS5_IS6_NS4_IJiS8_EEELb0EEESE_SG_EEENS4_IJSJ_SL_SK_EEESQ_SR_lEENS3_INS4_IJSU_SG_SG_EEESW_NS4_IJSN_NSI_IJLi3EEEENSI_IJLi4EEEEEEESO_lEELi128ELi128ELi16ELi4ELi4ELi4ELi1ENSI_IJLi8ELi2EEEES13_NSI_IJLi2ELi1ELi4ELi4EEEENSI_IJLi8ELi1ELi32ELi1EEEENSI_IJLi0ELi3ELi1ELi2EEEES16_NSI_IJLi1ELi1ELi4ELi1EEEES16_NSI_IJLi1ELi1ELi4ELi4EEEES14_S15_S16_S16_S17_S16_S18_NSI_IJLi0ELi1ELi2ELi3ELi4ELi5EEEELi5ELi4EEEaaNS3_INS4_IJSA_SE_SG_SG_NSB_INS4_IJiNS7_IiLi128EEEEEELb0EEENSF_ISC_EEEEENS4_IJSJ_SK_SL_SZ_SP_S10_EEENS4_IJSN_SO_SP_NSI_IJLi6EEEENSI_IJLi7ELi8EEEENSI_IJLi9EEEEEEENSI_IJLi6ELi7ELi8ELi9EEEElEENS3_INS4_IJSU_SE_SG_SG_S1D_S1E_EEENS4_IJSJ_SL_SK_SZ_SP_S10_EEES1K_S1L_lEENS3_INS4_IJSU_SG_SG_NSB_INS4_IJiNS7_IiLi2EEENS7_IiLi64EEEEEELb0EEES1T_EEENS4_IJSJ_SL_SK_SZ_S10_EEENS4_IJSN_SZ_S10_NSI_IJLi5ELi6ELi7EEEENSI_IJLi8ELi9ELi10EEEEEEENSI_IJLi5ELi6ELi7ELi8ELi9ELi10EEEElEENS_31BlockToCTileMap_M00_N00_M01_N01ILi128ELi128ES12_Lb0EEELb0ELb1EEEvPKT0_S25_PT1_T2_T3_T4_T5_
    .private_segment_fixed_size: 0
    .sgpr_count:     35
    .sgpr_spill_count: 0
    .symbol:         _ZN2ck19kernel_gemm_dl_v1r3INS_28GridwiseGemmDl_km_kn_mn_v1r3ILi256EaiaLNS_25InMemoryDataOperationEnumE0ENS_16TensorDescriptorINS_5TupleIJNS_5EmbedINS4_IJiiEEENS4_IJNS_17integral_constantIiLi1EEEiEEELb0EEENS_7UnMergeINS4_IJiNS7_IiLi4EEEEEELb0EEENS_11PassThroughIiEEEEENS4_IJNS_8SequenceIJLi0EEEENSI_IJLi2EEEENSI_IJLi1EEEEEEENS4_IJNSI_IJLi1ELi2EEEENSI_IJLi3ELi4EEEENSI_IJLi5EEEEEEENSI_IJLi3ELi5ELi4EEEElEENS3_INS4_IJNS5_IS6_NS4_IJiS8_EEELb0EEESE_SG_EEENS4_IJSJ_SL_SK_EEESQ_SR_lEENS3_INS4_IJSU_SG_SG_EEESW_NS4_IJSN_NSI_IJLi3EEEENSI_IJLi4EEEEEEESO_lEELi128ELi128ELi16ELi4ELi4ELi4ELi1ENSI_IJLi8ELi2EEEES13_NSI_IJLi2ELi1ELi4ELi4EEEENSI_IJLi8ELi1ELi32ELi1EEEENSI_IJLi0ELi3ELi1ELi2EEEES16_NSI_IJLi1ELi1ELi4ELi1EEEES16_NSI_IJLi1ELi1ELi4ELi4EEEES14_S15_S16_S16_S17_S16_S18_NSI_IJLi0ELi1ELi2ELi3ELi4ELi5EEEELi5ELi4EEEaaNS3_INS4_IJSA_SE_SG_SG_NSB_INS4_IJiNS7_IiLi128EEEEEELb0EEENSF_ISC_EEEEENS4_IJSJ_SK_SL_SZ_SP_S10_EEENS4_IJSN_SO_SP_NSI_IJLi6EEEENSI_IJLi7ELi8EEEENSI_IJLi9EEEEEEENSI_IJLi6ELi7ELi8ELi9EEEElEENS3_INS4_IJSU_SE_SG_SG_S1D_S1E_EEENS4_IJSJ_SL_SK_SZ_SP_S10_EEES1K_S1L_lEENS3_INS4_IJSU_SG_SG_NSB_INS4_IJiNS7_IiLi2EEENS7_IiLi64EEEEEELb0EEES1T_EEENS4_IJSJ_SL_SK_SZ_S10_EEENS4_IJSN_SZ_S10_NSI_IJLi5ELi6ELi7EEEENSI_IJLi8ELi9ELi10EEEEEEENSI_IJLi5ELi6ELi7ELi8ELi9ELi10EEEElEENS_31BlockToCTileMap_M00_N00_M01_N01ILi128ELi128ES12_Lb0EEELb0ELb1EEEvPKT0_S25_PT1_T2_T3_T4_T5_.kd
    .uniform_work_group_size: 1
    .uses_dynamic_stack: false
    .vgpr_count:     121
    .vgpr_spill_count: 0
    .wavefront_size: 32
    .workgroup_processor_mode: 1
  - .args:
      - .actual_access:  read_only
        .address_space:  global
        .offset:         0
        .size:           8
        .value_kind:     global_buffer
      - .actual_access:  read_only
        .address_space:  global
        .offset:         8
        .size:           8
        .value_kind:     global_buffer
      - .actual_access:  write_only
        .address_space:  global
        .offset:         16
        .size:           8
        .value_kind:     global_buffer
      - .offset:         24
        .size:           64
        .value_kind:     by_value
      - .offset:         88
        .size:           64
        .value_kind:     by_value
      - .offset:         152
        .size:           64
        .value_kind:     by_value
      - .offset:         216
        .size:           112
        .value_kind:     by_value
    .group_segment_fixed_size: 32768
    .kernarg_segment_align: 8
    .kernarg_segment_size: 328
    .language:       OpenCL C
    .language_version:
      - 2
      - 0
    .max_flat_workgroup_size: 256
    .name:           _ZN2ck19kernel_gemm_dl_v1r3INS_28GridwiseGemmDl_km_kn_mn_v1r3ILi256EaiaLNS_25InMemoryDataOperationEnumE0ENS_16TensorDescriptorINS_5TupleIJNS_5EmbedINS4_IJiiEEENS4_IJNS_17integral_constantIiLi1EEEiEEELb0EEENS_7UnMergeINS4_IJiNS7_IiLi4EEEEEELb0EEENS_11PassThroughIiEEEEENS4_IJNS_8SequenceIJLi0EEEENSI_IJLi2EEEENSI_IJLi1EEEEEEENS4_IJNSI_IJLi1ELi2EEEENSI_IJLi3ELi4EEEENSI_IJLi5EEEEEEENSI_IJLi3ELi5ELi4EEEElEENS3_INS4_IJNS5_IS6_NS4_IJiS8_EEELb0EEESE_SG_EEENS4_IJSJ_SL_SK_EEESQ_SR_lEENS3_INS4_IJSU_SG_SG_EEESW_NS4_IJSN_NSI_IJLi3EEEENSI_IJLi4EEEEEEESO_lEELi128ELi128ELi16ELi4ELi4ELi4ELi1ENSI_IJLi8ELi2EEEES13_NSI_IJLi2ELi1ELi4ELi4EEEENSI_IJLi8ELi1ELi32ELi1EEEENSI_IJLi0ELi3ELi1ELi2EEEES16_NSI_IJLi1ELi1ELi4ELi1EEEES16_NSI_IJLi1ELi1ELi4ELi4EEEES14_S15_S16_S16_S17_S16_S18_NSI_IJLi0ELi1ELi2ELi3ELi4ELi5EEEELi5ELi4EEEaaNS3_INS4_IJSA_SE_SG_SG_NSB_INS4_IJiNS7_IiLi128EEEEEELb0EEENSF_ISC_EEEEENS4_IJSJ_SK_SL_SZ_SP_S10_EEENS4_IJSN_SO_SP_NSI_IJLi6EEEENSI_IJLi7ELi8EEEENSI_IJLi9EEEEEEENSI_IJLi6ELi7ELi8ELi9EEEElEENS3_INS4_IJSU_SE_SG_SG_S1D_S1E_EEENS4_IJSJ_SL_SK_SZ_SP_S10_EEES1K_S1L_lEENS3_INS4_IJSU_SG_SG_NSB_INS4_IJiNS7_IiLi2EEENS7_IiLi64EEEEEELb0EEES1T_EEENS4_IJSJ_SL_SK_SZ_S10_EEENS4_IJSN_SZ_S10_NSI_IJLi5ELi6ELi7EEEENSI_IJLi8ELi9ELi10EEEEEEENSI_IJLi5ELi6ELi7ELi8ELi9ELi10EEEElEENS_31BlockToCTileMap_M00_N00_M01_N01ILi128ELi128ES12_Lb0EEELb0ELb0EEEvPKT0_S25_PT1_T2_T3_T4_T5_
    .private_segment_fixed_size: 0
    .sgpr_count:     35
    .sgpr_spill_count: 0
    .symbol:         _ZN2ck19kernel_gemm_dl_v1r3INS_28GridwiseGemmDl_km_kn_mn_v1r3ILi256EaiaLNS_25InMemoryDataOperationEnumE0ENS_16TensorDescriptorINS_5TupleIJNS_5EmbedINS4_IJiiEEENS4_IJNS_17integral_constantIiLi1EEEiEEELb0EEENS_7UnMergeINS4_IJiNS7_IiLi4EEEEEELb0EEENS_11PassThroughIiEEEEENS4_IJNS_8SequenceIJLi0EEEENSI_IJLi2EEEENSI_IJLi1EEEEEEENS4_IJNSI_IJLi1ELi2EEEENSI_IJLi3ELi4EEEENSI_IJLi5EEEEEEENSI_IJLi3ELi5ELi4EEEElEENS3_INS4_IJNS5_IS6_NS4_IJiS8_EEELb0EEESE_SG_EEENS4_IJSJ_SL_SK_EEESQ_SR_lEENS3_INS4_IJSU_SG_SG_EEESW_NS4_IJSN_NSI_IJLi3EEEENSI_IJLi4EEEEEEESO_lEELi128ELi128ELi16ELi4ELi4ELi4ELi1ENSI_IJLi8ELi2EEEES13_NSI_IJLi2ELi1ELi4ELi4EEEENSI_IJLi8ELi1ELi32ELi1EEEENSI_IJLi0ELi3ELi1ELi2EEEES16_NSI_IJLi1ELi1ELi4ELi1EEEES16_NSI_IJLi1ELi1ELi4ELi4EEEES14_S15_S16_S16_S17_S16_S18_NSI_IJLi0ELi1ELi2ELi3ELi4ELi5EEEELi5ELi4EEEaaNS3_INS4_IJSA_SE_SG_SG_NSB_INS4_IJiNS7_IiLi128EEEEEELb0EEENSF_ISC_EEEEENS4_IJSJ_SK_SL_SZ_SP_S10_EEENS4_IJSN_SO_SP_NSI_IJLi6EEEENSI_IJLi7ELi8EEEENSI_IJLi9EEEEEEENSI_IJLi6ELi7ELi8ELi9EEEElEENS3_INS4_IJSU_SE_SG_SG_S1D_S1E_EEENS4_IJSJ_SL_SK_SZ_SP_S10_EEES1K_S1L_lEENS3_INS4_IJSU_SG_SG_NSB_INS4_IJiNS7_IiLi2EEENS7_IiLi64EEEEEELb0EEES1T_EEENS4_IJSJ_SL_SK_SZ_S10_EEENS4_IJSN_SZ_S10_NSI_IJLi5ELi6ELi7EEEENSI_IJLi8ELi9ELi10EEEEEEENSI_IJLi5ELi6ELi7ELi8ELi9ELi10EEEElEENS_31BlockToCTileMap_M00_N00_M01_N01ILi128ELi128ES12_Lb0EEELb0ELb0EEEvPKT0_S25_PT1_T2_T3_T4_T5_.kd
    .uniform_work_group_size: 1
    .uses_dynamic_stack: false
    .vgpr_count:     124
    .vgpr_spill_count: 0
    .wavefront_size: 32
    .workgroup_processor_mode: 1
  - .args:
      - .actual_access:  read_only
        .address_space:  global
        .offset:         0
        .size:           8
        .value_kind:     global_buffer
      - .actual_access:  read_only
        .address_space:  global
        .offset:         8
        .size:           8
        .value_kind:     global_buffer
      - .actual_access:  write_only
        .address_space:  global
        .offset:         16
        .size:           8
        .value_kind:     global_buffer
      - .offset:         24
        .size:           4
        .value_kind:     by_value
      - .offset:         28
        .size:           4
        .value_kind:     by_value
      - .offset:         32
        .size:           4
        .value_kind:     by_value
      - .offset:         36
        .size:           1
        .value_kind:     by_value
      - .offset:         37
        .size:           1
        .value_kind:     by_value
      - .offset:         38
        .size:           1
        .value_kind:     by_value
      - .offset:         40
        .size:           4
        .value_kind:     hidden_block_count_x
      - .offset:         44
        .size:           4
        .value_kind:     hidden_block_count_y
      - .offset:         48
        .size:           4
        .value_kind:     hidden_block_count_z
      - .offset:         52
        .size:           2
        .value_kind:     hidden_group_size_x
      - .offset:         54
        .size:           2
        .value_kind:     hidden_group_size_y
      - .offset:         56
        .size:           2
        .value_kind:     hidden_group_size_z
      - .offset:         58
        .size:           2
        .value_kind:     hidden_remainder_x
      - .offset:         60
        .size:           2
        .value_kind:     hidden_remainder_y
      - .offset:         62
        .size:           2
        .value_kind:     hidden_remainder_z
      - .offset:         80
        .size:           8
        .value_kind:     hidden_global_offset_x
      - .offset:         88
        .size:           8
        .value_kind:     hidden_global_offset_y
      - .offset:         96
        .size:           8
        .value_kind:     hidden_global_offset_z
      - .offset:         104
        .size:           2
        .value_kind:     hidden_grid_dims
    .group_segment_fixed_size: 0
    .kernarg_segment_align: 8
    .kernarg_segment_size: 296
    .language:       OpenCL C
    .language_version:
      - 2
      - 0
    .max_flat_workgroup_size: 256
    .name:           _ZN2ck17naive_gemm_kernelINS_13tensor_layout4gemm11ColumnMajorENS2_8RowMajorES4_aaaiNS_16tensor_operation12element_wise11PassThroughES7_S7_aaEEvPKT2_PKT3_PT4_iiiT6_T7_T8_
    .private_segment_fixed_size: 0
    .sgpr_count:     14
    .sgpr_spill_count: 0
    .symbol:         _ZN2ck17naive_gemm_kernelINS_13tensor_layout4gemm11ColumnMajorENS2_8RowMajorES4_aaaiNS_16tensor_operation12element_wise11PassThroughES7_S7_aaEEvPKT2_PKT3_PT4_iiiT6_T7_T8_.kd
    .uniform_work_group_size: 1
    .uses_dynamic_stack: false
    .vgpr_count:     10
    .vgpr_spill_count: 0
    .wavefront_size: 32
    .workgroup_processor_mode: 1
amdhsa.target:   amdgcn-amd-amdhsa--gfx1030
amdhsa.version:
  - 1
  - 2
...

	.end_amdgpu_metadata
